;; amdgpu-corpus repo=ROCm/rocFFT kind=compiled arch=gfx906 opt=O3
	.text
	.amdgcn_target "amdgcn-amd-amdhsa--gfx906"
	.amdhsa_code_object_version 6
	.protected	bluestein_single_back_len1575_dim1_sp_op_CI_CI ; -- Begin function bluestein_single_back_len1575_dim1_sp_op_CI_CI
	.globl	bluestein_single_back_len1575_dim1_sp_op_CI_CI
	.p2align	8
	.type	bluestein_single_back_len1575_dim1_sp_op_CI_CI,@function
bluestein_single_back_len1575_dim1_sp_op_CI_CI: ; @bluestein_single_back_len1575_dim1_sp_op_CI_CI
; %bb.0:
	s_load_dwordx4 s[12:15], s[4:5], 0x28
	s_mov_b64 s[22:23], s[2:3]
	v_mul_u32_u24_e32 v1, 0x411, v0
	s_mov_b64 s[20:21], s[0:1]
	v_add_u32_sdwa v4, s6, v1 dst_sel:DWORD dst_unused:UNUSED_PAD src0_sel:DWORD src1_sel:WORD_1
	v_mov_b32_e32 v5, 0
	s_add_u32 s20, s20, s7
	s_waitcnt lgkmcnt(0)
	v_cmp_gt_u64_e32 vcc, s[12:13], v[4:5]
	s_addc_u32 s21, s21, 0
	s_and_saveexec_b64 s[0:1], vcc
	s_cbranch_execz .LBB0_31
; %bb.1:
	s_load_dwordx4 s[0:3], s[4:5], 0x18
	s_load_dwordx2 s[16:17], s[4:5], 0x0
	v_mov_b32_e32 v2, 63
	v_mul_lo_u16_sdwa v1, v1, v2 dst_sel:DWORD dst_unused:UNUSED_PAD src0_sel:WORD_1 src1_sel:DWORD
	v_sub_u16_e32 v233, v0, v1
	s_waitcnt lgkmcnt(0)
	s_load_dwordx4 s[8:11], s[0:1], 0x0
	v_mov_b32_e32 v5, v4
	buffer_store_dword v5, off, s[20:23], 0 offset:160 ; 4-byte Folded Spill
	s_nop 0
	buffer_store_dword v6, off, s[20:23], 0 offset:164 ; 4-byte Folded Spill
	v_lshlrev_b32_e32 v232, 3, v233
	v_add_co_u32_e64 v212, s[6:7], s16, v232
	s_waitcnt lgkmcnt(0)
	v_mad_u64_u32 v[0:1], s[0:1], s10, v4, 0
	v_mad_u64_u32 v[2:3], s[0:1], s8, v233, 0
	global_load_dwordx2 v[218:219], v232, s[16:17]
	v_mad_u64_u32 v[4:5], s[0:1], s11, v4, v[1:2]
	v_mad_u64_u32 v[5:6], s[0:1], s9, v233, v[3:4]
	v_mov_b32_e32 v1, v4
	v_lshlrev_b64 v[0:1], 3, v[0:1]
	v_mov_b32_e32 v6, s15
	v_mov_b32_e32 v3, v5
	v_add_co_u32_e32 v4, vcc, s14, v0
	v_addc_co_u32_e32 v5, vcc, v6, v1, vcc
	v_lshlrev_b64 v[0:1], 3, v[2:3]
	s_mul_i32 s0, s9, 0x20d
	s_mul_hi_u32 s1, s8, 0x20d
	v_add_co_u32_e32 v0, vcc, v4, v0
	v_mov_b32_e32 v2, s17
	s_add_i32 s1, s1, s0
	s_mul_i32 s0, s8, 0x20d
	v_addc_co_u32_e32 v1, vcc, v5, v1, vcc
	v_addc_co_u32_e64 v213, vcc, 0, v2, s[6:7]
	s_lshl_b64 s[14:15], s[0:1], 3
	v_mov_b32_e32 v46, s15
	v_add_co_u32_e32 v2, vcc, s14, v0
	v_addc_co_u32_e32 v3, vcc, v1, v46, vcc
	s_movk_i32 s0, 0x1000
	v_add_co_u32_e32 v8, vcc, s0, v212
	global_load_dwordx2 v[4:5], v[0:1], off
	global_load_dwordx2 v[6:7], v[2:3], off
	v_addc_co_u32_e32 v9, vcc, 0, v213, vcc
	global_load_dwordx2 v[34:35], v[8:9], off offset:104
	v_add_co_u32_e32 v2, vcc, s14, v2
	v_addc_co_u32_e32 v3, vcc, v3, v46, vcc
	s_movk_i32 s0, 0x2000
	s_mul_hi_u32 s1, s8, 0xfffffc25
	v_add_co_u32_e32 v0, vcc, s0, v212
	s_mul_i32 s0, s9, 0xfffffc25
	s_sub_i32 s1, s1, s8
	s_add_i32 s1, s1, s0
	s_mul_i32 s0, s8, 0xfffffc25
	v_addc_co_u32_e32 v1, vcc, 0, v213, vcc
	s_lshl_b64 s[18:19], s[0:1], 3
	global_load_dwordx2 v[10:11], v[2:3], off
	v_mov_b32_e32 v42, s19
	v_add_co_u32_e32 v2, vcc, s18, v2
	v_addc_co_u32_e32 v3, vcc, v3, v42, vcc
	v_add_co_u32_e32 v12, vcc, s14, v2
	v_addc_co_u32_e32 v13, vcc, v3, v46, vcc
	global_load_dwordx2 v[30:31], v[0:1], off offset:208
	global_load_dwordx2 v[32:33], v232, s[16:17] offset:504
	global_load_dwordx2 v[14:15], v[2:3], off
	global_load_dwordx2 v[16:17], v[12:13], off
	global_load_dwordx2 v[28:29], v[8:9], off offset:608
	v_add_co_u32_e32 v2, vcc, s14, v12
	v_addc_co_u32_e32 v3, vcc, v13, v46, vcc
	global_load_dwordx2 v[12:13], v[2:3], off
	global_load_dwordx2 v[26:27], v[0:1], off offset:712
	v_add_co_u32_e32 v2, vcc, s18, v2
	v_addc_co_u32_e32 v3, vcc, v3, v42, vcc
	global_load_dwordx2 v[18:19], v[2:3], off
	global_load_dwordx2 v[24:25], v232, s[16:17] offset:1008
	v_add_co_u32_e32 v2, vcc, s14, v2
	v_addc_co_u32_e32 v3, vcc, v3, v46, vcc
	global_load_dwordx2 v[20:21], v[2:3], off
	global_load_dwordx2 v[78:79], v[8:9], off offset:1112
	s_load_dwordx2 s[12:13], s[4:5], 0x38
	s_load_dwordx4 s[8:11], s[2:3], 0x0
	global_load_dwordx2 v[74:75], v232, s[16:17] offset:1512
	global_load_dwordx2 v[70:71], v[8:9], off offset:1616
	v_add_co_u32_e32 v2, vcc, s14, v2
	v_addc_co_u32_e32 v3, vcc, v3, v46, vcc
	v_cmp_gt_u16_e64 s[0:1], 21, v233
	s_waitcnt vmcnt(16)
	v_mul_f32_e32 v22, v5, v219
	v_fmac_f32_e32 v22, v4, v218
	v_mul_f32_e32 v4, v4, v219
	v_fma_f32 v23, v5, v218, -v4
	s_waitcnt vmcnt(14)
	v_mul_f32_e32 v4, v7, v35
	v_fmac_f32_e32 v4, v6, v34
	v_mul_f32_e32 v5, v6, v35
	buffer_store_dword v34, off, s[20:23], 0 offset:184 ; 4-byte Folded Spill
	s_nop 0
	buffer_store_dword v35, off, s[20:23], 0 offset:188 ; 4-byte Folded Spill
	v_fma_f32 v5, v7, v34, -v5
	ds_write_b64 v232, v[4:5] offset:4200
	s_waitcnt vmcnt(14)
	v_mul_f32_e32 v4, v11, v31
	global_load_dwordx2 v[80:81], v[0:1], off offset:1216
	global_load_dwordx2 v[68:69], v[0:1], off offset:1720
	v_fmac_f32_e32 v4, v10, v30
	v_mul_f32_e32 v5, v10, v31
	buffer_store_dword v30, off, s[20:23], 0 offset:168 ; 4-byte Folded Spill
	s_nop 0
	buffer_store_dword v31, off, s[20:23], 0 offset:172 ; 4-byte Folded Spill
	s_waitcnt vmcnt(12)
	v_mul_f32_e32 v10, v13, v27
	v_fmac_f32_e32 v10, v12, v26
	s_waitcnt vmcnt(8)
	v_mul_f32_e32 v7, v21, v79
	v_fmac_f32_e32 v7, v20, v78
	v_fma_f32 v5, v11, v30, -v5
	ds_write_b64 v232, v[4:5] offset:8400
	v_mul_f32_e32 v4, v15, v33
	v_fmac_f32_e32 v4, v14, v32
	v_mul_f32_e32 v5, v14, v33
	buffer_store_dword v32, off, s[20:23], 0 offset:176 ; 4-byte Folded Spill
	s_nop 0
	buffer_store_dword v33, off, s[20:23], 0 offset:180 ; 4-byte Folded Spill
	v_fma_f32 v5, v15, v32, -v5
	ds_write2_b64 v232, v[22:23], v[4:5] offset1:63
	v_mul_f32_e32 v5, v17, v29
	v_fmac_f32_e32 v5, v16, v28
	v_mul_f32_e32 v4, v16, v29
	buffer_store_dword v28, off, s[20:23], 0 offset:152 ; 4-byte Folded Spill
	s_nop 0
	buffer_store_dword v29, off, s[20:23], 0 offset:156 ; 4-byte Folded Spill
	v_fma_f32 v6, v17, v28, -v4
	v_mul_f32_e32 v4, v12, v27
	buffer_store_dword v26, off, s[20:23], 0 offset:144 ; 4-byte Folded Spill
	s_nop 0
	buffer_store_dword v27, off, s[20:23], 0 offset:148 ; 4-byte Folded Spill
	v_mul_f32_e32 v12, v19, v25
	v_fmac_f32_e32 v12, v18, v24
	v_fma_f32 v11, v13, v26, -v4
	v_mul_f32_e32 v4, v18, v25
	buffer_store_dword v24, off, s[20:23], 0 offset:128 ; 4-byte Folded Spill
	s_nop 0
	buffer_store_dword v25, off, s[20:23], 0 offset:132 ; 4-byte Folded Spill
	global_load_dwordx2 v[14:15], v[2:3], off
	v_add_co_u32_e32 v2, vcc, s18, v2
	v_addc_co_u32_e32 v3, vcc, v3, v42, vcc
	global_load_dwordx2 v[16:17], v[2:3], off
	v_add_co_u32_e32 v2, vcc, s14, v2
	v_addc_co_u32_e32 v3, vcc, v3, v46, vcc
	v_fma_f32 v13, v19, v24, -v4
	global_load_dwordx2 v[18:19], v[2:3], off
	v_add_co_u32_e32 v2, vcc, s14, v2
	v_addc_co_u32_e32 v3, vcc, v3, v46, vcc
	global_load_dwordx2 v[22:23], v[2:3], off
	v_add_co_u32_e32 v2, vcc, s18, v2
	v_addc_co_u32_e32 v3, vcc, v3, v42, vcc
	global_load_dwordx2 v[24:25], v[2:3], off
	global_load_dwordx2 v[76:77], v232, s[16:17] offset:2016
	v_add_co_u32_e32 v2, vcc, s14, v2
	v_addc_co_u32_e32 v3, vcc, v3, v46, vcc
	global_load_dwordx2 v[26:27], v[2:3], off
	global_load_dwordx2 v[72:73], v[8:9], off offset:2120
	v_add_co_u32_e32 v2, vcc, s14, v2
	v_addc_co_u32_e32 v3, vcc, v3, v46, vcc
	global_load_dwordx2 v[28:29], v[2:3], off
	global_load_dwordx2 v[66:67], v[0:1], off offset:2224
	v_add_co_u32_e32 v2, vcc, s18, v2
	v_addc_co_u32_e32 v3, vcc, v3, v42, vcc
	global_load_dwordx2 v[30:31], v[2:3], off
	global_load_dwordx2 v[64:65], v232, s[16:17] offset:2520
	v_add_co_u32_e32 v2, vcc, s14, v2
	v_addc_co_u32_e32 v3, vcc, v3, v46, vcc
	global_load_dwordx2 v[32:33], v[2:3], off
	global_load_dwordx2 v[62:63], v[8:9], off offset:2624
	v_add_co_u32_e32 v2, vcc, s14, v2
	v_addc_co_u32_e32 v3, vcc, v3, v46, vcc
	global_load_dwordx2 v[34:35], v[2:3], off
	global_load_dwordx2 v[60:61], v[0:1], off offset:2728
	v_add_co_u32_e32 v2, vcc, s18, v2
	v_addc_co_u32_e32 v3, vcc, v3, v42, vcc
	global_load_dwordx2 v[36:37], v[2:3], off
	global_load_dwordx2 v[58:59], v232, s[16:17] offset:3024
	v_add_co_u32_e32 v2, vcc, s14, v2
	v_addc_co_u32_e32 v3, vcc, v3, v46, vcc
	global_load_dwordx2 v[38:39], v[2:3], off
	global_load_dwordx2 v[56:57], v[8:9], off offset:3128
	v_add_co_u32_e32 v2, vcc, s14, v2
	v_addc_co_u32_e32 v3, vcc, v3, v46, vcc
	global_load_dwordx2 v[40:41], v[2:3], off
	global_load_dwordx2 v[54:55], v[0:1], off offset:3232
	v_add_co_u32_e32 v2, vcc, s18, v2
	v_addc_co_u32_e32 v3, vcc, v3, v42, vcc
	global_load_dwordx2 v[42:43], v[2:3], off
	global_load_dwordx2 v[52:53], v232, s[16:17] offset:3528
	v_add_co_u32_e32 v2, vcc, s14, v2
	v_addc_co_u32_e32 v3, vcc, v3, v46, vcc
	global_load_dwordx2 v[44:45], v[2:3], off
	global_load_dwordx2 v[50:51], v[8:9], off offset:3632
	v_add_co_u32_e32 v2, vcc, s14, v2
	v_addc_co_u32_e32 v3, vcc, v3, v46, vcc
	v_mul_f32_e32 v4, v20, v79
	global_load_dwordx2 v[46:47], v[2:3], off
	global_load_dwordx2 v[48:49], v[0:1], off offset:3736
	s_nop 0
	buffer_store_dword v78, off, s[20:23], 0 offset:120 ; 4-byte Folded Spill
	s_nop 0
	buffer_store_dword v79, off, s[20:23], 0 offset:124 ; 4-byte Folded Spill
	v_add_u32_e32 v20, 0x2800, v232
	s_waitcnt vmcnt(26)
	v_mul_f32_e32 v9, v22, v69
	v_fma_f32 v8, v21, v78, -v4
	v_add_u32_e32 v4, 0x1000, v232
	ds_write2_b64 v4, v[5:6], v[7:8] offset0:76 offset1:139
	v_mul_f32_e32 v6, v15, v81
	v_fmac_f32_e32 v6, v14, v80
	v_mul_f32_e32 v5, v14, v81
	buffer_store_dword v80, off, s[20:23], 0 offset:136 ; 4-byte Folded Spill
	s_nop 0
	buffer_store_dword v81, off, s[20:23], 0 offset:140 ; 4-byte Folded Spill
	v_mul_f32_e32 v8, v23, v69
	v_fmac_f32_e32 v8, v22, v68
	v_add_u32_e32 v14, 0x1400, v232
	v_fma_f32 v7, v15, v80, -v5
	v_add_u32_e32 v5, 0x2000, v232
	ds_write2_b64 v5, v[10:11], v[6:7] offset0:89 offset1:152
	v_mul_f32_e32 v6, v17, v75
	v_fmac_f32_e32 v6, v16, v74
	v_mul_f32_e32 v7, v16, v75
	buffer_store_dword v74, off, s[20:23], 0 offset:104 ; 4-byte Folded Spill
	s_nop 0
	buffer_store_dword v75, off, s[20:23], 0 offset:108 ; 4-byte Folded Spill
	s_waitcnt vmcnt(28)
	v_mul_f32_e32 v10, v25, v77
	v_fmac_f32_e32 v10, v24, v76
	v_mul_f32_e32 v11, v24, v77
	v_add_u32_e32 v16, 0x1800, v232
	v_fma_f32 v7, v17, v74, -v7
	ds_write2_b64 v232, v[12:13], v[6:7] offset0:126 offset1:189
	v_mul_f32_e32 v6, v19, v71
	s_waitcnt vmcnt(26)
	v_mul_f32_e32 v12, v27, v73
	v_fmac_f32_e32 v6, v18, v70
	v_mul_f32_e32 v7, v18, v71
	buffer_store_dword v70, off, s[20:23], 0 offset:88 ; 4-byte Folded Spill
	s_nop 0
	buffer_store_dword v71, off, s[20:23], 0 offset:92 ; 4-byte Folded Spill
	buffer_store_dword v68, off, s[20:23], 0 offset:80 ; 4-byte Folded Spill
	s_nop 0
	buffer_store_dword v69, off, s[20:23], 0 offset:84 ; 4-byte Folded Spill
	;; [unrolled: 3-line block ×3, first 2 shown]
	v_fmac_f32_e32 v12, v26, v72
	v_mul_f32_e32 v13, v26, v73
	buffer_store_dword v72, off, s[20:23], 0 offset:96 ; 4-byte Folded Spill
	s_nop 0
	buffer_store_dword v73, off, s[20:23], 0 offset:100 ; 4-byte Folded Spill
	v_add_u32_e32 v17, 0x800, v232
	v_fma_f32 v7, v19, v70, -v7
	v_fma_f32 v9, v23, v68, -v9
	;; [unrolled: 1-line block ×4, first 2 shown]
	ds_write2_b64 v14, v[6:7], v[12:13] offset0:74 offset1:137
	s_waitcnt vmcnt(32)
	v_mul_f32_e32 v6, v29, v67
	v_fmac_f32_e32 v6, v28, v66
	v_mul_f32_e32 v7, v28, v67
	buffer_store_dword v66, off, s[20:23], 0 offset:72 ; 4-byte Folded Spill
	s_nop 0
	buffer_store_dword v67, off, s[20:23], 0 offset:76 ; 4-byte Folded Spill
	v_add_u32_e32 v12, 0x2400, v232
	s_waitcnt vmcnt(24)
	v_mul_f32_e32 v13, v39, v57
	v_fmac_f32_e32 v13, v38, v56
	v_mul_f32_e32 v14, v38, v57
	v_fma_f32 v7, v29, v66, -v7
	ds_write2_b64 v12, v[8:9], v[6:7] offset0:87 offset1:150
	v_mul_f32_e32 v7, v31, v65
	v_fmac_f32_e32 v7, v30, v64
	v_mul_f32_e32 v6, v30, v65
	buffer_store_dword v64, off, s[20:23], 0 offset:64 ; 4-byte Folded Spill
	s_nop 0
	buffer_store_dword v65, off, s[20:23], 0 offset:68 ; 4-byte Folded Spill
	v_mul_f32_e32 v9, v35, v61
	v_fmac_f32_e32 v9, v34, v60
	v_mul_f32_e32 v12, v36, v59
	v_fma_f32 v8, v31, v64, -v6
	v_add_u32_e32 v6, 0x400, v232
	ds_write2_b64 v6, v[10:11], v[7:8] offset0:124 offset1:187
	v_mul_f32_e32 v7, v33, v63
	v_mul_f32_e32 v11, v37, v59
	v_fmac_f32_e32 v7, v32, v62
	v_mul_f32_e32 v8, v32, v63
	buffer_store_dword v62, off, s[20:23], 0 offset:56 ; 4-byte Folded Spill
	s_nop 0
	buffer_store_dword v63, off, s[20:23], 0 offset:60 ; 4-byte Folded Spill
	v_mul_f32_e32 v10, v34, v61
	buffer_store_dword v60, off, s[20:23], 0 offset:48 ; 4-byte Folded Spill
	s_nop 0
	buffer_store_dword v61, off, s[20:23], 0 offset:52 ; 4-byte Folded Spill
	v_fmac_f32_e32 v11, v36, v58
	buffer_store_dword v58, off, s[20:23], 0 offset:40 ; 4-byte Folded Spill
	s_nop 0
	buffer_store_dword v59, off, s[20:23], 0 offset:44 ; 4-byte Folded Spill
	buffer_store_dword v56, off, s[20:23], 0 offset:32 ; 4-byte Folded Spill
	s_nop 0
	buffer_store_dword v57, off, s[20:23], 0 offset:36 ; 4-byte Folded Spill
	v_fma_f32 v8, v33, v62, -v8
	v_fma_f32 v10, v35, v60, -v10
	;; [unrolled: 1-line block ×4, first 2 shown]
	ds_write2_b64 v16, v[7:8], v[13:14] offset0:72 offset1:135
	s_waitcnt vmcnt(32)
	v_mul_f32_e32 v7, v41, v55
	v_fmac_f32_e32 v7, v40, v54
	v_mul_f32_e32 v8, v40, v55
	buffer_store_dword v54, off, s[20:23], 0 offset:24 ; 4-byte Folded Spill
	s_nop 0
	buffer_store_dword v55, off, s[20:23], 0 offset:28 ; 4-byte Folded Spill
	v_fma_f32 v8, v41, v54, -v8
	ds_write2_b64 v20, v[9:10], v[7:8] offset0:85 offset1:148
	s_waitcnt vmcnt(32)
	v_mul_f32_e32 v7, v43, v53
	v_fmac_f32_e32 v7, v42, v52
	v_mul_f32_e32 v8, v42, v53
	buffer_store_dword v52, off, s[20:23], 0 offset:16 ; 4-byte Folded Spill
	s_nop 0
	buffer_store_dword v53, off, s[20:23], 0 offset:20 ; 4-byte Folded Spill
	v_fma_f32 v8, v43, v52, -v8
	;; [unrolled: 9-line block ×3, first 2 shown]
	ds_write_b64 v232, v[7:8] offset:7728
	s_waitcnt vmcnt(32)
	v_mul_f32_e32 v7, v47, v49
	v_fmac_f32_e32 v7, v46, v48
	v_mul_f32_e32 v8, v46, v49
	buffer_store_dword v48, off, s[20:23], 0 ; 4-byte Folded Spill
	s_nop 0
	buffer_store_dword v49, off, s[20:23], 0 offset:4 ; 4-byte Folded Spill
	v_fma_f32 v8, v47, v48, -v8
	ds_write_b64 v232, v[7:8] offset:11928
	s_and_saveexec_b64 s[2:3], s[0:1]
	s_cbranch_execz .LBB0_3
; %bb.2:
	v_mov_b32_e32 v7, s19
	v_add_co_u32_e32 v2, vcc, s18, v2
	v_addc_co_u32_e32 v3, vcc, v3, v7, vcc
	global_load_dwordx2 v[7:8], v[2:3], off
	v_mov_b32_e32 v15, s15
	v_add_co_u32_e32 v2, vcc, s14, v2
	v_addc_co_u32_e32 v3, vcc, v3, v15, vcc
	global_load_dwordx2 v[9:10], v[2:3], off
	global_load_dwordx2 v[11:12], v[212:213], off offset:4032
	global_load_dwordx2 v[13:14], v[0:1], off offset:40
	v_add_co_u32_e32 v0, vcc, s14, v2
	v_addc_co_u32_e32 v1, vcc, v3, v15, vcc
	v_add_co_u32_e32 v2, vcc, 0x3000, v212
	v_addc_co_u32_e32 v3, vcc, 0, v213, vcc
	global_load_dwordx2 v[18:19], v[2:3], off offset:144
	global_load_dwordx2 v[21:22], v[0:1], off
	s_waitcnt vmcnt(3)
	v_mul_f32_e32 v0, v8, v12
	v_mul_f32_e32 v1, v7, v12
	v_fmac_f32_e32 v0, v7, v11
	v_fma_f32 v1, v8, v11, -v1
	s_waitcnt vmcnt(2)
	v_mul_f32_e32 v2, v10, v14
	v_mul_f32_e32 v3, v9, v14
	ds_write_b64 v232, v[0:1] offset:4032
	v_fmac_f32_e32 v2, v9, v13
	v_fma_f32 v3, v10, v13, -v3
	ds_write_b64 v232, v[2:3] offset:8232
	s_waitcnt vmcnt(0)
	v_mul_f32_e32 v0, v22, v19
	v_mul_f32_e32 v1, v21, v19
	v_fmac_f32_e32 v0, v21, v18
	v_fma_f32 v1, v22, v18, -v1
	ds_write_b64 v232, v[0:1] offset:12432
.LBB0_3:
	s_or_b64 exec, exec, s[2:3]
	s_waitcnt lgkmcnt(0)
	; wave barrier
	s_waitcnt lgkmcnt(0)
	ds_read2_b64 v[12:15], v232 offset1:63
	ds_read2_b64 v[40:43], v4 offset0:13 offset1:76
	ds_read2_b64 v[44:47], v5 offset0:26 offset1:89
	;; [unrolled: 1-line block ×11, first 2 shown]
                                        ; implicit-def: $vgpr86
                                        ; implicit-def: $vgpr50
                                        ; implicit-def: $vgpr48
	s_and_saveexec_b64 s[2:3], s[0:1]
	s_cbranch_execz .LBB0_5
; %bb.4:
	ds_read_b64 v[86:87], v232 offset:4032
	ds_read_b64 v[48:49], v232 offset:8232
	;; [unrolled: 1-line block ×3, first 2 shown]
.LBB0_5:
	s_or_b64 exec, exec, s[2:3]
	s_waitcnt lgkmcnt(9)
	v_add_f32_e32 v53, v40, v44
	v_add_f32_e32 v52, v12, v40
	v_fma_f32 v12, -0.5, v53, v12
	v_sub_f32_e32 v53, v41, v45
	v_mov_b32_e32 v54, v12
	v_fmac_f32_e32 v54, 0x3f5db3d7, v53
	v_fmac_f32_e32 v12, 0xbf5db3d7, v53
	v_add_f32_e32 v53, v13, v41
	v_add_f32_e32 v41, v41, v45
	v_fma_f32 v13, -0.5, v41, v13
	v_sub_f32_e32 v40, v40, v44
	v_mov_b32_e32 v55, v13
	v_add_f32_e32 v41, v42, v46
	v_fmac_f32_e32 v55, 0xbf5db3d7, v40
	v_fmac_f32_e32 v13, 0x3f5db3d7, v40
	v_add_f32_e32 v40, v14, v42
	v_fma_f32 v14, -0.5, v41, v14
	v_add_f32_e32 v52, v52, v44
	v_sub_f32_e32 v41, v43, v47
	v_mov_b32_e32 v44, v14
	v_fmac_f32_e32 v44, 0x3f5db3d7, v41
	v_fmac_f32_e32 v14, 0xbf5db3d7, v41
	v_add_f32_e32 v41, v15, v43
	v_add_f32_e32 v43, v43, v47
	v_fmac_f32_e32 v15, -0.5, v43
	v_add_f32_e32 v53, v53, v45
	v_sub_f32_e32 v42, v42, v46
	v_mov_b32_e32 v45, v15
	s_waitcnt lgkmcnt(6)
	v_add_f32_e32 v43, v32, v36
	v_fmac_f32_e32 v45, 0xbf5db3d7, v42
	v_fmac_f32_e32 v15, 0x3f5db3d7, v42
	v_add_f32_e32 v42, v8, v32
	v_fma_f32 v8, -0.5, v43, v8
	v_add_f32_e32 v40, v40, v46
	v_sub_f32_e32 v43, v33, v37
	v_mov_b32_e32 v46, v8
	v_fmac_f32_e32 v46, 0x3f5db3d7, v43
	v_fmac_f32_e32 v8, 0xbf5db3d7, v43
	v_add_f32_e32 v43, v9, v33
	v_add_f32_e32 v33, v33, v37
	v_fma_f32 v9, -0.5, v33, v9
	v_add_f32_e32 v41, v41, v47
	v_sub_f32_e32 v32, v32, v36
	v_mov_b32_e32 v47, v9
	v_add_f32_e32 v33, v34, v38
	v_fmac_f32_e32 v47, 0xbf5db3d7, v32
	v_fmac_f32_e32 v9, 0x3f5db3d7, v32
	v_add_f32_e32 v32, v10, v34
	v_fma_f32 v10, -0.5, v33, v10
	v_add_f32_e32 v42, v42, v36
	v_sub_f32_e32 v33, v35, v39
	v_mov_b32_e32 v36, v10
	v_fmac_f32_e32 v36, 0x3f5db3d7, v33
	v_fmac_f32_e32 v10, 0xbf5db3d7, v33
	v_add_f32_e32 v33, v11, v35
	v_add_f32_e32 v35, v35, v39
	v_fmac_f32_e32 v11, -0.5, v35
	v_add_f32_e32 v43, v43, v37
	v_sub_f32_e32 v34, v34, v38
	v_mov_b32_e32 v37, v11
	s_waitcnt lgkmcnt(3)
	v_add_f32_e32 v35, v24, v28
	v_fmac_f32_e32 v37, 0xbf5db3d7, v34
	v_fmac_f32_e32 v11, 0x3f5db3d7, v34
	v_add_f32_e32 v34, v4, v24
	v_fma_f32 v4, -0.5, v35, v4
	v_add_f32_e32 v32, v32, v38
	v_sub_f32_e32 v35, v25, v29
	v_mov_b32_e32 v38, v4
	v_fmac_f32_e32 v38, 0x3f5db3d7, v35
	v_fmac_f32_e32 v4, 0xbf5db3d7, v35
	v_add_f32_e32 v35, v5, v25
	v_add_f32_e32 v25, v25, v29
	v_fma_f32 v5, -0.5, v25, v5
	v_add_f32_e32 v33, v33, v39
	;; [unrolled: 33-line block ×3, first 2 shown]
	v_sub_f32_e32 v16, v16, v20
	v_mov_b32_e32 v31, v1
	v_add_f32_e32 v17, v18, v22
	v_fmac_f32_e32 v31, 0xbf5db3d7, v16
	v_fmac_f32_e32 v1, 0x3f5db3d7, v16
	v_add_f32_e32 v16, v2, v18
	v_fma_f32 v2, -0.5, v17, v2
	v_add_f32_e32 v26, v26, v20
	v_sub_f32_e32 v17, v19, v23
	v_mov_b32_e32 v20, v2
	v_fmac_f32_e32 v20, 0x3f5db3d7, v17
	v_fmac_f32_e32 v2, 0xbf5db3d7, v17
	v_add_f32_e32 v17, v3, v19
	v_add_f32_e32 v19, v19, v23
	v_fmac_f32_e32 v3, -0.5, v19
	v_add_f32_e32 v27, v27, v21
	v_sub_f32_e32 v18, v18, v22
	v_mov_b32_e32 v21, v3
	v_fmac_f32_e32 v21, 0xbf5db3d7, v18
	v_fmac_f32_e32 v3, 0x3f5db3d7, v18
	v_add_f32_e32 v18, v86, v48
	v_add_f32_e32 v84, v50, v18
	;; [unrolled: 1-line block ×3, first 2 shown]
	v_fmac_f32_e32 v86, -0.5, v18
	v_sub_f32_e32 v18, v49, v51
	v_mov_b32_e32 v88, v86
	v_fmac_f32_e32 v88, 0x3f5db3d7, v18
	v_fmac_f32_e32 v86, 0xbf5db3d7, v18
	v_add_f32_e32 v18, v87, v49
	v_add_f32_e32 v85, v51, v18
	;; [unrolled: 1-line block ×3, first 2 shown]
	v_fmac_f32_e32 v87, -0.5, v18
	v_sub_f32_e32 v18, v48, v50
	v_mov_b32_e32 v89, v87
	v_fmac_f32_e32 v89, 0xbf5db3d7, v18
	v_fmac_f32_e32 v87, 0x3f5db3d7, v18
	v_mul_lo_u16_e32 v18, 3, v233
	v_add_co_u32_e32 v159, vcc, 63, v233
	v_lshlrev_b32_e32 v18, 3, v18
	s_waitcnt lgkmcnt(0)
	; wave barrier
	ds_write_b64 v18, v[12:13] offset:16
	v_mul_u32_u24_e32 v12, 3, v159
	v_add_co_u32_e32 v158, vcc, 0x7e, v233
	v_lshlrev_b32_e32 v12, 3, v12
	ds_write2_b64 v18, v[52:53], v[54:55] offset1:1
	ds_write2_b64 v12, v[40:41], v[44:45] offset1:1
	buffer_store_dword v12, off, s[20:23], 0 offset:196 ; 4-byte Folded Spill
	ds_write_b64 v12, v[14:15] offset:16
	v_mul_u32_u24_e32 v12, 3, v158
	v_add_co_u32_e32 v157, vcc, 0xbd, v233
	v_lshlrev_b32_e32 v12, 3, v12
	s_movk_i32 s2, 0xfc
	ds_write_b64 v12, v[8:9] offset:16
	v_mul_u32_u24_e32 v8, 3, v157
	v_add_co_u32_e32 v156, vcc, s2, v233
	v_lshlrev_b32_e32 v8, 3, v8
	s_movk_i32 s2, 0x13b
	ds_write2_b64 v12, v[42:43], v[46:47] offset1:1
	ds_write2_b64 v8, v[32:33], v[36:37] offset1:1
	buffer_store_dword v8, off, s[20:23], 0 offset:204 ; 4-byte Folded Spill
	ds_write_b64 v8, v[10:11] offset:16
	v_mul_u32_u24_e32 v8, 3, v156
	v_add_co_u32_e32 v93, vcc, s2, v233
	v_lshlrev_b32_e32 v8, 3, v8
	s_movk_i32 s2, 0x17a
	ds_write_b64 v8, v[4:5] offset:16
	v_mul_u32_u24_e32 v4, 3, v93
	v_add_co_u32_e32 v92, vcc, s2, v233
	v_lshlrev_b32_e32 v4, 3, v4
	s_load_dwordx2 s[4:5], s[4:5], 0x8
	s_movk_i32 s2, 0x1b9
	ds_write2_b64 v8, v[34:35], v[38:39] offset1:1
	ds_write2_b64 v4, v[24:25], v[28:29] offset1:1
	buffer_store_dword v4, off, s[20:23], 0 offset:212 ; 4-byte Folded Spill
	ds_write_b64 v4, v[6:7] offset:16
	v_mul_u32_u24_e32 v4, 3, v92
	v_add_co_u32_e32 v91, vcc, s2, v233
	v_lshlrev_b32_e32 v4, 3, v4
	s_movk_i32 s2, 0x1f8
	ds_write_b64 v4, v[0:1] offset:16
	v_mul_u32_u24_e32 v0, 3, v91
	v_add_co_u32_e32 v90, vcc, s2, v233
	v_add_f32_e32 v16, v16, v22
	v_add_f32_e32 v17, v17, v23
	v_lshlrev_b32_e32 v0, 3, v0
	ds_write2_b64 v4, v[26:27], v[30:31] offset1:1
	ds_write2_b64 v0, v[16:17], v[20:21] offset1:1
	buffer_store_dword v0, off, s[20:23], 0 offset:220 ; 4-byte Folded Spill
	ds_write_b64 v0, v[2:3] offset:16
	v_mul_u32_u24_e32 v0, 3, v90
	buffer_store_dword v18, off, s[20:23], 0 offset:192 ; 4-byte Folded Spill
	buffer_store_dword v12, off, s[20:23], 0 offset:200 ; 4-byte Folded Spill
	;; [unrolled: 1-line block ×5, first 2 shown]
	s_and_saveexec_b64 s[2:3], s[0:1]
	s_cbranch_execz .LBB0_7
; %bb.6:
	v_mul_u32_u24_e32 v0, 3, v90
	v_lshlrev_b32_e32 v0, 3, v0
	ds_write2_b64 v0, v[84:85], v[88:89] offset1:1
	ds_write_b64 v0, v[86:87] offset:16
.LBB0_7:
	s_or_b64 exec, exec, s[2:3]
	v_add_u32_e32 v0, 0x1000, v232
	v_add_u32_e32 v1, 0x2000, v232
	s_waitcnt lgkmcnt(0)
	; wave barrier
	s_waitcnt lgkmcnt(0)
	ds_read2_b64 v[48:51], v232 offset1:63
	ds_read2_b64 v[72:75], v0 offset0:13 offset1:76
	ds_read2_b64 v[76:79], v1 offset0:26 offset1:89
	;; [unrolled: 1-line block ×5, first 2 shown]
	v_add_u32_e32 v0, 0x400, v232
	ds_read2_b64 v[40:43], v0 offset0:124 offset1:187
	v_add_u32_e32 v0, 0x1800, v232
	v_add_u32_e32 v1, 0x2800, v232
	;; [unrolled: 1-line block ×3, first 2 shown]
	ds_read2_b64 v[64:67], v0 offset0:9 offset1:72
	ds_read2_b64 v[60:63], v1 offset0:22 offset1:85
	;; [unrolled: 1-line block ×5, first 2 shown]
	s_and_saveexec_b64 s[2:3], s[0:1]
	s_cbranch_execz .LBB0_9
; %bb.8:
	ds_read_b64 v[84:85], v232 offset:4032
	ds_read_b64 v[88:89], v232 offset:8232
	;; [unrolled: 1-line block ×3, first 2 shown]
.LBB0_9:
	s_or_b64 exec, exec, s[2:3]
	s_movk_i32 s2, 0xab
	v_mul_lo_u16_sdwa v0, v233, s2 dst_sel:DWORD dst_unused:UNUSED_PAD src0_sel:BYTE_0 src1_sel:DWORD
	v_mul_lo_u16_sdwa v1, v159, s2 dst_sel:DWORD dst_unused:UNUSED_PAD src0_sel:BYTE_0 src1_sel:DWORD
	;; [unrolled: 1-line block ×4, first 2 shown]
	s_mov_b32 s2, 0xaaab
	v_lshrrev_b16_e32 v94, 9, v0
	v_lshrrev_b16_e32 v96, 9, v1
	v_mul_u32_u24_sdwa v16, v156, s2 dst_sel:DWORD dst_unused:UNUSED_PAD src0_sel:WORD_0 src1_sel:DWORD
	v_mul_lo_u16_e32 v0, 3, v94
	v_mul_lo_u16_e32 v1, 3, v96
	v_lshrrev_b16_e32 v98, 9, v8
	v_lshrrev_b32_e32 v102, 17, v16
	v_sub_u16_e32 v0, v233, v0
	v_sub_u16_e32 v1, v159, v1
	v_mul_lo_u16_e32 v8, 3, v98
	v_lshrrev_b16_e32 v100, 9, v9
	v_mul_lo_u16_e32 v16, 3, v102
	v_and_b32_e32 v95, 0xff, v0
	v_and_b32_e32 v97, 0xff, v1
	v_sub_u16_e32 v8, v158, v8
	v_mul_lo_u16_e32 v9, 3, v100
	v_mul_u32_u24_sdwa v17, v93, s2 dst_sel:DWORD dst_unused:UNUSED_PAD src0_sel:WORD_0 src1_sel:DWORD
	v_sub_u16_e32 v104, v156, v16
	v_lshlrev_b32_e32 v0, 4, v95
	v_lshlrev_b32_e32 v1, 4, v97
	v_and_b32_e32 v99, 0xff, v8
	v_sub_u16_e32 v9, v157, v9
	v_lshrrev_b32_e32 v103, 17, v17
	v_lshlrev_b16_e32 v16, 1, v104
	global_load_dwordx4 v[4:7], v0, s[4:5]
	s_nop 0
	global_load_dwordx4 v[0:3], v1, s[4:5]
	v_lshlrev_b32_e32 v8, 4, v99
	v_and_b32_e32 v101, 0xff, v9
	v_mul_lo_u16_e32 v17, 3, v103
	v_lshlrev_b32_e32 v16, 3, v16
	v_mul_u32_u24_sdwa v24, v92, s2 dst_sel:DWORD dst_unused:UNUSED_PAD src0_sel:WORD_0 src1_sel:DWORD
	v_mul_u32_u24_sdwa v32, v90, s2 dst_sel:DWORD dst_unused:UNUSED_PAD src0_sel:WORD_0 src1_sel:DWORD
	global_load_dwordx4 v[12:15], v8, s[4:5]
	global_load_dwordx4 v[20:23], v16, s[4:5]
	v_lshlrev_b32_e32 v8, 4, v101
	v_sub_u16_e32 v93, v93, v17
	v_lshrrev_b32_e32 v105, 17, v24
	v_lshrrev_b32_e32 v107, 17, v32
	global_load_dwordx4 v[8:11], v8, s[4:5]
	v_lshlrev_b16_e32 v16, 1, v93
	v_mul_u32_u24_sdwa v25, v91, s2 dst_sel:DWORD dst_unused:UNUSED_PAD src0_sel:WORD_0 src1_sel:DWORD
	v_mul_lo_u16_e32 v24, 3, v105
	v_mul_lo_u16_e32 v32, 3, v107
	v_lshlrev_b32_e32 v16, 3, v16
	global_load_dwordx4 v[16:19], v16, s[4:5]
	v_lshrrev_b32_e32 v106, 17, v25
	v_sub_u16_e32 v92, v92, v24
	v_sub_u16_e32 v90, v90, v32
	v_mul_lo_u16_e32 v25, 3, v106
	v_lshlrev_b16_e32 v24, 1, v92
	v_lshlrev_b16_e32 v32, 1, v90
	v_lshlrev_b32_e32 v24, 3, v24
	v_sub_u16_e32 v91, v91, v25
	v_lshlrev_b32_e32 v32, 3, v32
	global_load_dwordx4 v[28:31], v24, s[4:5]
	s_waitcnt vmcnt(6) lgkmcnt(10)
	v_mul_f32_e32 v109, v72, v5
	global_load_dwordx4 v[32:35], v32, s[4:5]
	v_lshlrev_b16_e32 v24, 1, v91
	v_lshlrev_b32_e32 v24, 3, v24
	global_load_dwordx4 v[24:27], v24, s[4:5]
	s_waitcnt vmcnt(7)
	v_mul_f32_e32 v111, v74, v1
	s_waitcnt lgkmcnt(9)
	v_mul_f32_e32 v114, v79, v3
	v_mul_f32_e32 v110, v75, v1
	;; [unrolled: 1-line block ×3, first 2 shown]
	v_fmac_f32_e32 v111, v75, v0
	v_fma_f32 v75, v78, v2, -v114
	s_waitcnt vmcnt(6) lgkmcnt(6)
	v_mul_f32_e32 v78, v69, v15
	v_mul_f32_e32 v112, v77, v7
	v_mul_f32_e32 v116, v81, v13
	v_fmac_f32_e32 v115, v79, v2
	v_mul_f32_e32 v79, v68, v15
	v_fma_f32 v78, v68, v14, -v78
	s_waitcnt vmcnt(4)
	v_mul_f32_e32 v68, v71, v11
	v_mul_f32_e32 v108, v73, v5
	;; [unrolled: 1-line block ×6, first 2 shown]
	v_fmac_f32_e32 v109, v73, v4
	v_fma_f32 v73, v74, v0, -v110
	v_fma_f32 v74, v76, v6, -v112
	;; [unrolled: 1-line block ×4, first 2 shown]
	s_waitcnt lgkmcnt(4)
	v_mul_f32_e32 v68, v65, v21
	v_fmac_f32_e32 v113, v77, v6
	v_fma_f32 v77, v82, v8, -v118
	v_fmac_f32_e32 v119, v83, v8
	v_fma_f32 v82, v64, v20, -v68
	v_mul_f32_e32 v83, v64, v21
	s_waitcnt vmcnt(3)
	v_mul_f32_e32 v64, v67, v17
	v_fma_f32 v72, v72, v4, -v108
	v_fma_f32 v108, v66, v16, -v64
	s_waitcnt lgkmcnt(3)
	v_mul_f32_e32 v64, v61, v23
	v_fma_f32 v112, v60, v22, -v64
	v_mul_f32_e32 v114, v60, v23
	v_mul_f32_e32 v60, v63, v19
	v_fma_f32 v116, v62, v18, -v60
	s_waitcnt vmcnt(2) lgkmcnt(1)
	v_mul_f32_e32 v60, v57, v29
	v_fma_f32 v120, v56, v28, -v60
	v_mul_f32_e32 v121, v56, v29
	v_fmac_f32_e32 v114, v61, v22
	v_fmac_f32_e32 v121, v57, v28
	v_sub_f32_e32 v57, v109, v113
	v_mul_f32_e32 v118, v62, v19
	v_sub_f32_e32 v62, v111, v115
	v_fmac_f32_e32 v118, v63, v18
	v_sub_f32_e32 v64, v73, v75
	v_fmac_f32_e32 v117, v81, v12
	v_fmac_f32_e32 v79, v69, v14
	;; [unrolled: 1-line block ×3, first 2 shown]
	v_mul_f32_e32 v110, v66, v17
	v_sub_f32_e32 v65, v117, v79
	v_fmac_f32_e32 v110, v67, v16
	v_mul_f32_e32 v81, v70, v11
	v_fmac_f32_e32 v81, v71, v10
	v_sub_f32_e32 v70, v119, v81
	s_waitcnt lgkmcnt(0)
	v_mul_f32_e32 v125, v52, v31
	s_waitcnt lgkmcnt(0)
	; wave barrier
	v_fmac_f32_e32 v125, v53, v30
	s_waitcnt vmcnt(0)
	v_mul_f32_e32 v56, v59, v25
	v_fma_f32 v122, v58, v24, -v56
	v_mul_f32_e32 v56, v53, v31
	v_fma_f32 v124, v52, v30, -v56
	v_add_f32_e32 v56, v72, v74
	v_fma_f32 v56, -0.5, v56, v48
	v_add_f32_e32 v48, v48, v72
	v_add_f32_e32 v60, v48, v74
	;; [unrolled: 1-line block ×3, first 2 shown]
	v_mul_f32_e32 v123, v58, v25
	v_mov_b32_e32 v58, v56
	v_add_f32_e32 v61, v48, v113
	v_add_f32_e32 v48, v109, v113
	v_fmac_f32_e32 v58, 0x3f5db3d7, v57
	v_fmac_f32_e32 v56, 0xbf5db3d7, v57
	v_fma_f32 v57, -0.5, v48, v49
	v_fmac_f32_e32 v123, v59, v24
	v_sub_f32_e32 v48, v72, v74
	v_mov_b32_e32 v59, v57
	v_fmac_f32_e32 v59, 0xbf5db3d7, v48
	v_fmac_f32_e32 v57, 0x3f5db3d7, v48
	v_add_f32_e32 v48, v73, v75
	v_add_f32_e32 v49, v50, v73
	v_fma_f32 v50, -0.5, v48, v50
	v_mov_b32_e32 v48, v50
	v_fmac_f32_e32 v48, 0x3f5db3d7, v62
	v_fmac_f32_e32 v50, 0xbf5db3d7, v62
	v_add_f32_e32 v62, v49, v75
	v_add_f32_e32 v49, v51, v111
	;; [unrolled: 1-line block ×4, first 2 shown]
	v_fmac_f32_e32 v51, -0.5, v49
	v_mov_b32_e32 v49, v51
	v_fmac_f32_e32 v49, 0xbf5db3d7, v64
	v_fmac_f32_e32 v51, 0x3f5db3d7, v64
	v_add_f32_e32 v64, v76, v78
	v_fma_f32 v64, -0.5, v64, v44
	v_add_f32_e32 v44, v44, v76
	v_add_f32_e32 v68, v44, v78
	;; [unrolled: 1-line block ×3, first 2 shown]
	v_mov_b32_e32 v66, v64
	v_add_f32_e32 v69, v44, v79
	v_add_f32_e32 v44, v117, v79
	v_fmac_f32_e32 v66, 0x3f5db3d7, v65
	v_fmac_f32_e32 v64, 0xbf5db3d7, v65
	v_fma_f32 v65, -0.5, v44, v45
	v_sub_f32_e32 v44, v76, v78
	v_mov_b32_e32 v67, v65
	v_fmac_f32_e32 v67, 0xbf5db3d7, v44
	v_fmac_f32_e32 v65, 0x3f5db3d7, v44
	v_add_f32_e32 v44, v77, v80
	v_add_f32_e32 v45, v46, v77
	v_fma_f32 v46, -0.5, v44, v46
	v_mov_b32_e32 v44, v46
	v_fmac_f32_e32 v44, 0x3f5db3d7, v70
	v_fmac_f32_e32 v46, 0xbf5db3d7, v70
	v_add_f32_e32 v70, v45, v80
	v_add_f32_e32 v45, v47, v119
	;; [unrolled: 1-line block ×4, first 2 shown]
	v_fmac_f32_e32 v47, -0.5, v45
	v_mul_f32_e32 v127, v54, v27
	v_sub_f32_e32 v72, v77, v80
	v_mov_b32_e32 v45, v47
	v_mul_f32_e32 v52, v55, v27
	v_fmac_f32_e32 v127, v55, v26
	v_mul_f32_e32 v55, v86, v35
	v_fmac_f32_e32 v45, 0xbf5db3d7, v72
	v_fmac_f32_e32 v47, 0x3f5db3d7, v72
	v_mul_u32_u24_e32 v72, 9, v94
	v_fma_f32 v126, v54, v26, -v52
	v_mul_f32_e32 v54, v87, v35
	v_fmac_f32_e32 v55, v87, v34
	v_add_lshl_u32 v87, v72, v95, 3
	v_add_f32_e32 v72, v82, v112
	ds_write2_b64 v87, v[60:61], v[58:59] offset1:3
	v_fma_f32 v58, -0.5, v72, v40
	v_add_f32_e32 v40, v40, v82
	v_add_f32_e32 v72, v40, v112
	;; [unrolled: 1-line block ×3, first 2 shown]
	v_sub_f32_e32 v59, v83, v114
	v_mov_b32_e32 v60, v58
	v_add_f32_e32 v73, v40, v114
	v_add_f32_e32 v40, v83, v114
	v_fmac_f32_e32 v60, 0x3f5db3d7, v59
	v_fmac_f32_e32 v58, 0xbf5db3d7, v59
	v_fma_f32 v59, -0.5, v40, v41
	v_sub_f32_e32 v40, v82, v112
	v_mov_b32_e32 v61, v59
	v_fmac_f32_e32 v61, 0xbf5db3d7, v40
	v_fmac_f32_e32 v59, 0x3f5db3d7, v40
	v_add_f32_e32 v40, v108, v116
	v_add_f32_e32 v41, v42, v108
	v_fma_f32 v42, -0.5, v40, v42
	v_sub_f32_e32 v74, v110, v118
	v_mov_b32_e32 v40, v42
	v_fmac_f32_e32 v40, 0x3f5db3d7, v74
	v_fmac_f32_e32 v42, 0xbf5db3d7, v74
	v_add_f32_e32 v74, v41, v116
	v_add_f32_e32 v41, v43, v110
	;; [unrolled: 1-line block ×4, first 2 shown]
	v_fmac_f32_e32 v43, -0.5, v41
	v_sub_f32_e32 v76, v108, v116
	v_mov_b32_e32 v41, v43
	v_fmac_f32_e32 v41, 0xbf5db3d7, v76
	v_fmac_f32_e32 v43, 0x3f5db3d7, v76
	v_add_f32_e32 v76, v120, v124
	v_fma_f32 v76, -0.5, v76, v36
	v_add_f32_e32 v36, v36, v120
	v_add_f32_e32 v80, v36, v124
	v_add_f32_e32 v36, v37, v121
	v_sub_f32_e32 v77, v121, v125
	v_mov_b32_e32 v78, v76
	v_add_f32_e32 v81, v36, v125
	v_add_f32_e32 v36, v121, v125
	v_fmac_f32_e32 v78, 0x3f5db3d7, v77
	v_fmac_f32_e32 v76, 0xbf5db3d7, v77
	v_fma_f32 v77, -0.5, v36, v37
	v_sub_f32_e32 v36, v120, v124
	v_mov_b32_e32 v79, v77
	v_fmac_f32_e32 v79, 0xbf5db3d7, v36
	v_fmac_f32_e32 v77, 0x3f5db3d7, v36
	v_add_f32_e32 v36, v122, v126
	v_add_f32_e32 v37, v38, v122
	v_fma_f32 v38, -0.5, v36, v38
	v_sub_f32_e32 v82, v123, v127
	v_mov_b32_e32 v36, v38
	v_fmac_f32_e32 v36, 0x3f5db3d7, v82
	v_fmac_f32_e32 v38, 0xbf5db3d7, v82
	v_add_f32_e32 v82, v37, v126
	v_add_f32_e32 v37, v39, v123
	;; [unrolled: 1-line block ×4, first 2 shown]
	v_mul_f32_e32 v52, v89, v33
	v_fmac_f32_e32 v39, -0.5, v37
	v_fma_f32 v52, v88, v32, -v52
	v_fma_f32 v54, v86, v34, -v54
	v_sub_f32_e32 v86, v122, v126
	v_mov_b32_e32 v37, v39
	v_mul_f32_e32 v53, v88, v33
	v_fmac_f32_e32 v37, 0xbf5db3d7, v86
	v_fmac_f32_e32 v39, 0x3f5db3d7, v86
	v_add_f32_e32 v86, v52, v54
	v_fmac_f32_e32 v53, v89, v32
	v_fma_f32 v126, -0.5, v86, v84
	ds_write_b64 v87, v[56:57] offset:48
	v_mov_b32_e32 v124, v126
	v_sub_f32_e32 v56, v53, v55
	v_fmac_f32_e32 v124, 0x3f5db3d7, v56
	v_fmac_f32_e32 v126, 0xbf5db3d7, v56
	v_add_f32_e32 v56, v53, v55
	v_fma_f32 v127, -0.5, v56, v85
	v_mov_b32_e32 v125, v127
	v_sub_f32_e32 v56, v52, v54
	v_fmac_f32_e32 v125, 0xbf5db3d7, v56
	v_fmac_f32_e32 v127, 0x3f5db3d7, v56
	v_mul_u32_u24_e32 v56, 9, v96
	v_add_lshl_u32 v56, v56, v97, 3
	ds_write2_b64 v56, v[62:63], v[48:49] offset1:3
	v_mul_u32_u24_e32 v48, 9, v98
	v_add_lshl_u32 v48, v48, v99, 3
	ds_write_b64 v56, v[50:51] offset:48
	ds_write2_b64 v48, v[68:69], v[66:67] offset1:3
	buffer_store_dword v48, off, s[20:23], 0 offset:232 ; 4-byte Folded Spill
	ds_write_b64 v48, v[64:65] offset:48
	v_mul_u32_u24_e32 v48, 9, v100
	v_add_lshl_u32 v48, v48, v101, 3
	ds_write2_b64 v48, v[70:71], v[44:45] offset1:3
	v_mad_legacy_u16 v44, v102, 9, v104
	v_lshlrev_b32_e32 v44, 3, v44
	ds_write_b64 v48, v[46:47] offset:48
	ds_write2_b64 v44, v[72:73], v[60:61] offset1:3
	buffer_store_dword v44, off, s[20:23], 0 offset:240 ; 4-byte Folded Spill
	ds_write_b64 v44, v[58:59] offset:48
	v_mad_legacy_u16 v44, v103, 9, v93
	v_lshlrev_b32_e32 v44, 3, v44
	ds_write2_b64 v44, v[74:75], v[40:41] offset1:3
	v_mad_legacy_u16 v40, v105, 9, v92
	v_lshlrev_b32_e32 v40, 3, v40
	ds_write_b64 v44, v[42:43] offset:48
	ds_write2_b64 v40, v[80:81], v[78:79] offset1:3
	buffer_store_dword v40, off, s[20:23], 0 offset:248 ; 4-byte Folded Spill
	ds_write_b64 v40, v[76:77] offset:48
	v_mad_legacy_u16 v40, v106, 9, v91
	v_lshlrev_b32_e32 v40, 3, v40
	ds_write2_b64 v40, v[82:83], v[36:37] offset1:3
	v_mad_legacy_u16 v36, v107, 9, v90
	buffer_store_dword v87, off, s[20:23], 0 offset:224 ; 4-byte Folded Spill
	buffer_store_dword v56, off, s[20:23], 0 offset:228 ; 4-byte Folded Spill
	buffer_store_dword v48, off, s[20:23], 0 offset:236 ; 4-byte Folded Spill
	buffer_store_dword v44, off, s[20:23], 0 offset:244 ; 4-byte Folded Spill
	buffer_store_dword v40, off, s[20:23], 0 offset:256 ; 4-byte Folded Spill
	ds_write_b64 v40, v[38:39] offset:48
	buffer_store_dword v36, off, s[20:23], 0 offset:252 ; 4-byte Folded Spill
	s_and_saveexec_b64 s[2:3], s[0:1]
	s_cbranch_execz .LBB0_11
; %bb.10:
	buffer_load_dword v38, off, s[20:23], 0 offset:252 ; 4-byte Folded Reload
	v_add_f32_e32 v36, v85, v53
	v_add_f32_e32 v37, v36, v55
	;; [unrolled: 1-line block ×4, first 2 shown]
	s_waitcnt vmcnt(0)
	v_lshlrev_b32_e32 v38, 3, v38
	ds_write2_b64 v38, v[36:37], v[124:125] offset1:3
	ds_write_b64 v38, v[126:127] offset:48
.LBB0_11:
	s_or_b64 exec, exec, s[2:3]
	v_mov_b32_e32 v60, 57
	v_mul_lo_u16_sdwa v36, v233, v60 dst_sel:DWORD dst_unused:UNUSED_PAD src0_sel:BYTE_0 src1_sel:DWORD
	v_lshrrev_b16_e32 v86, 9, v36
	v_mul_lo_u16_e32 v36, 9, v86
	v_sub_u16_e32 v36, v233, v36
	v_and_b32_e32 v88, 0xff, v36
	v_lshlrev_b32_e32 v44, 5, v88
	s_waitcnt lgkmcnt(0)
	; wave barrier
	s_waitcnt lgkmcnt(0)
	global_load_dwordx4 v[40:43], v44, s[4:5] offset:48
	global_load_dwordx4 v[36:39], v44, s[4:5] offset:64
	v_mul_lo_u16_sdwa v44, v159, v60 dst_sel:DWORD dst_unused:UNUSED_PAD src0_sel:BYTE_0 src1_sel:DWORD
	v_lshrrev_b16_e32 v89, 9, v44
	v_mul_lo_u16_e32 v44, 9, v89
	v_sub_u16_e32 v44, v159, v44
	v_mul_lo_u16_sdwa v52, v158, v60 dst_sel:DWORD dst_unused:UNUSED_PAD src0_sel:BYTE_0 src1_sel:DWORD
	v_and_b32_e32 v90, 0xff, v44
	v_lshrrev_b16_e32 v91, 9, v52
	v_lshlrev_b32_e32 v44, 5, v90
	v_mul_lo_u16_e32 v52, 9, v91
	global_load_dwordx4 v[48:51], v44, s[4:5] offset:48
	s_nop 0
	global_load_dwordx4 v[44:47], v44, s[4:5] offset:64
	v_sub_u16_e32 v52, v158, v52
	v_mul_lo_u16_sdwa v60, v157, v60 dst_sel:DWORD dst_unused:UNUSED_PAD src0_sel:BYTE_0 src1_sel:DWORD
	v_and_b32_e32 v92, 0xff, v52
	v_lshrrev_b16_e32 v96, 9, v60
	v_lshlrev_b32_e32 v52, 5, v92
	v_mul_lo_u16_e32 v60, 9, v96
	s_mov_b32 s2, 0xe38f
	global_load_dwordx4 v[56:59], v52, s[4:5] offset:48
	s_nop 0
	global_load_dwordx4 v[52:55], v52, s[4:5] offset:64
	v_sub_u16_e32 v60, v157, v60
	v_mul_u32_u24_sdwa v69, v156, s2 dst_sel:DWORD dst_unused:UNUSED_PAD src0_sel:WORD_0 src1_sel:DWORD
	v_and_b32_e32 v97, 0xff, v60
	v_lshrrev_b32_e32 v99, 19, v69
	v_lshlrev_b32_e32 v64, 5, v97
	v_mul_lo_u16_e32 v69, 9, v99
	ds_read2_b64 v[76:79], v232 offset1:63
	global_load_dwordx4 v[60:63], v64, s[4:5] offset:64
	s_nop 0
	global_load_dwordx4 v[64:67], v64, s[4:5] offset:48
	v_sub_u16_e32 v100, v156, v69
	v_lshlrev_b16_e32 v69, 5, v100
	v_mov_b32_e32 v68, s5
	v_add_co_u32_e32 v72, vcc, s4, v69
	v_addc_co_u32_e32 v73, vcc, 0, v68, vcc
	ds_read2_b64 v[80:83], v232 offset0:126 offset1:189
	global_load_dwordx4 v[68:71], v[72:73], off offset:64
	s_nop 0
	global_load_dwordx4 v[72:75], v[72:73], off offset:48
	v_add_u32_e32 v101, 0x400, v232
	v_add_u32_e32 v109, 0x2400, v232
	;; [unrolled: 1-line block ×10, first 2 shown]
	ds_read_b64 v[121:122], v232 offset:12096
	ds_read2_b64 v[128:131], v101 offset0:124 offset1:187
	ds_read2_b64 v[101:104], v85 offset0:118 offset1:181
	;; [unrolled: 1-line block ×10, first 2 shown]
	v_mul_u32_u24_e32 v86, 45, v86
	v_add_lshl_u32 v86, v86, v88, 3
	s_waitcnt lgkmcnt(0)
	; wave barrier
	s_waitcnt lgkmcnt(0)
	v_cmp_gt_u16_e64 s[2:3], 36, v233
	s_waitcnt vmcnt(9)
	v_mul_f32_e32 v123, v131, v41
	v_mul_f32_e32 v149, v102, v43
	;; [unrolled: 1-line block ×4, first 2 shown]
	s_waitcnt vmcnt(8)
	v_mul_f32_e32 v152, v107, v37
	v_mul_f32_e32 v153, v110, v39
	v_fma_f32 v123, v130, v40, -v123
	v_fma_f32 v130, v101, v42, -v149
	v_mul_f32_e32 v151, v108, v37
	v_fmac_f32_e32 v152, v108, v36
	s_waitcnt vmcnt(7)
	v_mul_f32_e32 v101, v104, v51
	v_fma_f32 v108, v109, v38, -v153
	v_fma_f32 v153, v103, v50, -v101
	s_waitcnt vmcnt(6)
	v_mul_f32_e32 v101, v118, v45
	v_fmac_f32_e32 v148, v131, v40
	v_fma_f32 v131, v107, v36, -v151
	v_mul_f32_e32 v151, v113, v49
	v_fma_f32 v160, v117, v44, -v101
	v_mul_f32_e32 v101, v112, v47
	v_mul_f32_e32 v155, v114, v49
	v_fmac_f32_e32 v151, v114, v48
	v_fma_f32 v114, v111, v46, -v101
	s_waitcnt vmcnt(5)
	v_mul_f32_e32 v101, v116, v57
	v_fma_f32 v161, v115, v56, -v101
	v_mul_f32_e32 v101, v133, v59
	v_fma_f32 v163, v132, v58, -v101
	v_mul_f32_e32 v132, v132, v59
	s_waitcnt vmcnt(4)
	v_mul_f32_e32 v101, v120, v53
	v_fmac_f32_e32 v132, v133, v58
	v_fma_f32 v133, v119, v52, -v101
	v_mul_f32_e32 v101, v137, v55
	v_fma_f32 v165, v136, v54, -v101
	s_waitcnt vmcnt(2)
	v_mul_f32_e32 v101, v141, v65
	v_fma_f32 v167, v140, v64, -v101
	v_mul_f32_e32 v101, v135, v67
	v_fma_f32 v169, v134, v66, -v101
	v_mul_f32_e32 v134, v134, v67
	v_mul_f32_e32 v101, v145, v61
	v_fmac_f32_e32 v134, v135, v66
	v_fma_f32 v135, v144, v60, -v101
	v_mul_f32_e32 v170, v144, v61
	v_mul_f32_e32 v101, v139, v63
	;; [unrolled: 1-line block ×3, first 2 shown]
	v_fmac_f32_e32 v150, v102, v42
	v_fmac_f32_e32 v170, v145, v60
	v_fma_f32 v145, v138, v62, -v101
	s_waitcnt vmcnt(0)
	v_mul_f32_e32 v101, v143, v73
	v_add_f32_e32 v102, v130, v131
	v_fmac_f32_e32 v154, v110, v38
	v_fma_f32 v149, v113, v48, -v155
	v_mul_f32_e32 v155, v103, v51
	v_fma_f32 v172, v142, v72, -v101
	v_mul_f32_e32 v101, v106, v75
	v_fma_f32 v103, -0.5, v102, v76
	v_fma_f32 v174, v105, v74, -v101
	v_mul_f32_e32 v175, v105, v75
	v_sub_f32_e32 v102, v148, v154
	v_mov_b32_e32 v105, v103
	v_fmac_f32_e32 v155, v104, v50
	v_fmac_f32_e32 v175, v106, v74
	;; [unrolled: 1-line block ×3, first 2 shown]
	v_sub_f32_e32 v104, v150, v152
	v_sub_f32_e32 v106, v123, v130
	;; [unrolled: 1-line block ×3, first 2 shown]
	v_fmac_f32_e32 v103, 0xbf737871, v102
	v_mul_f32_e32 v101, v147, v69
	v_fmac_f32_e32 v105, 0x3f167918, v104
	v_add_f32_e32 v106, v106, v107
	v_fmac_f32_e32 v103, 0xbf167918, v104
	v_fma_f32 v176, v146, v68, -v101
	v_mul_f32_e32 v101, v122, v71
	v_fmac_f32_e32 v105, 0x3e9e377a, v106
	v_fmac_f32_e32 v103, 0x3e9e377a, v106
	v_add_f32_e32 v106, v123, v108
	v_fma_f32 v178, v121, v70, -v101
	v_add_f32_e32 v101, v76, v123
	v_fma_f32 v76, -0.5, v106, v76
	v_mov_b32_e32 v107, v76
	v_fmac_f32_e32 v107, 0xbf737871, v104
	v_sub_f32_e32 v106, v130, v123
	v_sub_f32_e32 v109, v131, v108
	v_fmac_f32_e32 v76, 0x3f737871, v104
	v_add_f32_e32 v104, v150, v152
	v_add_f32_e32 v101, v101, v130
	v_fmac_f32_e32 v107, 0x3f167918, v102
	v_add_f32_e32 v106, v106, v109
	v_fmac_f32_e32 v76, 0xbf167918, v102
	v_fma_f32 v104, -0.5, v104, v77
	v_mul_f32_e32 v117, v117, v45
	v_add_f32_e32 v101, v101, v131
	v_fmac_f32_e32 v107, 0x3e9e377a, v106
	v_fmac_f32_e32 v76, 0x3e9e377a, v106
	v_sub_f32_e32 v109, v123, v108
	v_mov_b32_e32 v106, v104
	v_fmac_f32_e32 v117, v118, v44
	v_mul_f32_e32 v118, v111, v47
	v_add_f32_e32 v101, v101, v108
	v_fmac_f32_e32 v106, 0xbf737871, v109
	v_sub_f32_e32 v110, v130, v131
	v_sub_f32_e32 v108, v148, v150
	;; [unrolled: 1-line block ×3, first 2 shown]
	v_fmac_f32_e32 v104, 0x3f737871, v109
	v_fmac_f32_e32 v106, 0xbf167918, v110
	v_add_f32_e32 v108, v108, v111
	v_fmac_f32_e32 v104, 0x3f167918, v110
	v_fmac_f32_e32 v106, 0x3e9e377a, v108
	;; [unrolled: 1-line block ×3, first 2 shown]
	v_add_f32_e32 v108, v148, v154
	v_add_f32_e32 v102, v77, v148
	v_fma_f32 v77, -0.5, v108, v77
	v_mov_b32_e32 v108, v77
	v_fmac_f32_e32 v118, v112, v46
	v_fmac_f32_e32 v108, 0x3f737871, v110
	v_sub_f32_e32 v111, v150, v148
	v_sub_f32_e32 v112, v152, v154
	v_fmac_f32_e32 v77, 0xbf737871, v110
	v_fmac_f32_e32 v108, 0xbf167918, v109
	v_add_f32_e32 v111, v111, v112
	v_fmac_f32_e32 v77, 0x3f167918, v109
	v_add_f32_e32 v110, v153, v160
	v_fmac_f32_e32 v108, 0x3e9e377a, v111
	v_fmac_f32_e32 v77, 0x3e9e377a, v111
	v_fma_f32 v111, -0.5, v110, v78
	v_mul_f32_e32 v162, v115, v57
	v_sub_f32_e32 v110, v151, v118
	v_mov_b32_e32 v113, v111
	v_fmac_f32_e32 v162, v116, v56
	v_fmac_f32_e32 v113, 0x3f737871, v110
	v_sub_f32_e32 v112, v155, v117
	v_sub_f32_e32 v115, v149, v153
	;; [unrolled: 1-line block ×3, first 2 shown]
	v_fmac_f32_e32 v111, 0xbf737871, v110
	v_fmac_f32_e32 v113, 0x3f167918, v112
	v_add_f32_e32 v115, v115, v116
	v_fmac_f32_e32 v111, 0xbf167918, v112
	v_fmac_f32_e32 v113, 0x3e9e377a, v115
	;; [unrolled: 1-line block ×3, first 2 shown]
	v_add_f32_e32 v115, v149, v114
	v_add_f32_e32 v109, v78, v149
	v_fma_f32 v78, -0.5, v115, v78
	v_mov_b32_e32 v115, v78
	v_add_f32_e32 v109, v109, v153
	v_fmac_f32_e32 v115, 0xbf737871, v112
	v_fmac_f32_e32 v78, 0x3f737871, v112
	v_add_f32_e32 v112, v155, v117
	v_mul_f32_e32 v164, v119, v53
	v_add_f32_e32 v109, v109, v160
	v_sub_f32_e32 v116, v153, v149
	v_sub_f32_e32 v119, v160, v114
	v_fma_f32 v112, -0.5, v112, v79
	v_add_f32_e32 v109, v109, v114
	v_fmac_f32_e32 v115, 0x3f167918, v110
	v_add_f32_e32 v116, v116, v119
	v_fmac_f32_e32 v78, 0xbf167918, v110
	v_sub_f32_e32 v119, v149, v114
	v_mov_b32_e32 v114, v112
	v_fmac_f32_e32 v164, v120, v52
	v_mul_f32_e32 v179, v121, v71
	v_fmac_f32_e32 v115, 0x3e9e377a, v116
	v_fmac_f32_e32 v78, 0x3e9e377a, v116
	;; [unrolled: 1-line block ×3, first 2 shown]
	v_sub_f32_e32 v120, v153, v160
	v_sub_f32_e32 v116, v151, v155
	;; [unrolled: 1-line block ×3, first 2 shown]
	v_fmac_f32_e32 v112, 0x3f737871, v119
	v_fmac_f32_e32 v114, 0xbf167918, v120
	v_add_f32_e32 v116, v116, v121
	v_fmac_f32_e32 v112, 0x3f167918, v120
	v_add_f32_e32 v110, v79, v151
	v_fmac_f32_e32 v114, 0x3e9e377a, v116
	v_fmac_f32_e32 v112, 0x3e9e377a, v116
	v_add_f32_e32 v116, v151, v118
	v_add_f32_e32 v110, v110, v155
	v_fmac_f32_e32 v79, -0.5, v116
	v_add_f32_e32 v110, v110, v117
	v_mov_b32_e32 v116, v79
	v_mul_f32_e32 v166, v136, v55
	v_add_f32_e32 v110, v110, v118
	v_fmac_f32_e32 v116, 0x3f737871, v120
	v_sub_f32_e32 v117, v117, v118
	v_fmac_f32_e32 v79, 0xbf737871, v120
	v_add_f32_e32 v118, v163, v133
	v_fmac_f32_e32 v166, v137, v54
	v_fmac_f32_e32 v116, 0xbf167918, v119
	v_sub_f32_e32 v121, v155, v151
	v_fmac_f32_e32 v79, 0x3f167918, v119
	v_fma_f32 v119, -0.5, v118, v80
	v_add_f32_e32 v117, v121, v117
	v_sub_f32_e32 v118, v162, v166
	v_mov_b32_e32 v121, v119
	v_fmac_f32_e32 v179, v122, v70
	v_fmac_f32_e32 v121, 0x3f737871, v118
	v_sub_f32_e32 v120, v132, v164
	v_sub_f32_e32 v122, v161, v163
	;; [unrolled: 1-line block ×3, first 2 shown]
	v_fmac_f32_e32 v119, 0xbf737871, v118
	v_fmac_f32_e32 v121, 0x3f167918, v120
	v_add_f32_e32 v122, v122, v123
	v_fmac_f32_e32 v119, 0xbf167918, v120
	v_fmac_f32_e32 v121, 0x3e9e377a, v122
	;; [unrolled: 1-line block ×3, first 2 shown]
	v_add_f32_e32 v122, v161, v165
	v_fmac_f32_e32 v116, 0x3e9e377a, v117
	v_fmac_f32_e32 v79, 0x3e9e377a, v117
	v_add_f32_e32 v117, v80, v161
	v_fma_f32 v80, -0.5, v122, v80
	v_mov_b32_e32 v136, v80
	v_fmac_f32_e32 v136, 0xbf737871, v120
	v_sub_f32_e32 v122, v163, v161
	v_sub_f32_e32 v123, v133, v165
	v_fmac_f32_e32 v80, 0x3f737871, v120
	v_add_f32_e32 v120, v132, v164
	v_fmac_f32_e32 v136, 0x3f167918, v118
	v_add_f32_e32 v122, v122, v123
	v_fmac_f32_e32 v80, 0xbf167918, v118
	v_fma_f32 v120, -0.5, v120, v81
	v_add_f32_e32 v117, v117, v163
	v_fmac_f32_e32 v136, 0x3e9e377a, v122
	v_fmac_f32_e32 v80, 0x3e9e377a, v122
	v_sub_f32_e32 v123, v161, v165
	v_mov_b32_e32 v122, v120
	v_add_f32_e32 v117, v117, v133
	v_fmac_f32_e32 v122, 0xbf737871, v123
	v_sub_f32_e32 v130, v163, v133
	v_sub_f32_e32 v131, v162, v132
	;; [unrolled: 1-line block ×3, first 2 shown]
	v_fmac_f32_e32 v120, 0x3f737871, v123
	v_fmac_f32_e32 v122, 0xbf167918, v130
	v_add_f32_e32 v131, v131, v133
	v_fmac_f32_e32 v120, 0x3f167918, v130
	v_fmac_f32_e32 v122, 0x3e9e377a, v131
	;; [unrolled: 1-line block ×3, first 2 shown]
	v_add_f32_e32 v131, v162, v166
	v_add_f32_e32 v118, v81, v162
	v_fma_f32 v81, -0.5, v131, v81
	v_mov_b32_e32 v137, v81
	v_fmac_f32_e32 v137, 0x3f737871, v130
	v_fmac_f32_e32 v81, 0xbf737871, v130
	;; [unrolled: 1-line block ×4, first 2 shown]
	v_add_f32_e32 v123, v82, v167
	v_add_f32_e32 v123, v123, v169
	;; [unrolled: 1-line block ×3, first 2 shown]
	v_mul_f32_e32 v168, v140, v65
	v_mul_f32_e32 v171, v138, v63
	v_add_f32_e32 v138, v123, v145
	v_add_f32_e32 v123, v169, v135
	v_fmac_f32_e32 v168, v141, v64
	v_fmac_f32_e32 v171, v139, v62
	v_add_f32_e32 v118, v118, v132
	v_sub_f32_e32 v131, v132, v162
	v_sub_f32_e32 v132, v164, v166
	v_fma_f32 v140, -0.5, v123, v82
	v_mul_f32_e32 v173, v142, v73
	v_add_f32_e32 v131, v131, v132
	v_sub_f32_e32 v123, v168, v171
	v_mov_b32_e32 v142, v140
	v_fmac_f32_e32 v137, 0x3e9e377a, v131
	v_fmac_f32_e32 v81, 0x3e9e377a, v131
	;; [unrolled: 1-line block ×3, first 2 shown]
	v_sub_f32_e32 v130, v134, v170
	v_sub_f32_e32 v131, v167, v169
	;; [unrolled: 1-line block ×3, first 2 shown]
	v_fmac_f32_e32 v140, 0xbf737871, v123
	v_fmac_f32_e32 v142, 0x3f167918, v130
	v_add_f32_e32 v131, v131, v132
	v_fmac_f32_e32 v140, 0xbf167918, v130
	v_fmac_f32_e32 v142, 0x3e9e377a, v131
	;; [unrolled: 1-line block ×3, first 2 shown]
	v_add_f32_e32 v131, v167, v145
	v_fma_f32 v82, -0.5, v131, v82
	v_mov_b32_e32 v144, v82
	v_fmac_f32_e32 v144, 0xbf737871, v130
	v_fmac_f32_e32 v82, 0x3f737871, v130
	;; [unrolled: 1-line block ×4, first 2 shown]
	v_add_f32_e32 v123, v83, v168
	v_add_f32_e32 v123, v123, v134
	;; [unrolled: 1-line block ×5, first 2 shown]
	v_sub_f32_e32 v131, v169, v167
	v_sub_f32_e32 v132, v135, v145
	v_fma_f32 v141, -0.5, v123, v83
	v_fmac_f32_e32 v173, v143, v72
	v_add_f32_e32 v131, v131, v132
	v_sub_f32_e32 v123, v167, v145
	v_mov_b32_e32 v143, v141
	v_fmac_f32_e32 v144, 0x3e9e377a, v131
	v_fmac_f32_e32 v82, 0x3e9e377a, v131
	;; [unrolled: 1-line block ×3, first 2 shown]
	v_sub_f32_e32 v130, v169, v135
	v_sub_f32_e32 v131, v168, v134
	;; [unrolled: 1-line block ×3, first 2 shown]
	v_fmac_f32_e32 v141, 0x3f737871, v123
	v_fmac_f32_e32 v143, 0xbf167918, v130
	v_add_f32_e32 v131, v131, v132
	v_fmac_f32_e32 v141, 0x3f167918, v130
	v_fmac_f32_e32 v143, 0x3e9e377a, v131
	;; [unrolled: 1-line block ×3, first 2 shown]
	v_add_f32_e32 v131, v168, v171
	v_fmac_f32_e32 v83, -0.5, v131
	v_mov_b32_e32 v145, v83
	v_fmac_f32_e32 v145, 0x3f737871, v130
	v_fmac_f32_e32 v83, 0xbf737871, v130
	;; [unrolled: 1-line block ×4, first 2 shown]
	v_add_f32_e32 v123, v128, v172
	v_add_f32_e32 v123, v123, v174
	;; [unrolled: 1-line block ×3, first 2 shown]
	v_mul_f32_e32 v177, v146, v69
	v_add_f32_e32 v146, v123, v178
	v_add_f32_e32 v123, v174, v176
	v_sub_f32_e32 v131, v134, v168
	v_sub_f32_e32 v132, v170, v171
	v_fma_f32 v130, -0.5, v123, v128
	v_fmac_f32_e32 v177, v147, v68
	v_add_f32_e32 v131, v131, v132
	v_sub_f32_e32 v123, v173, v179
	v_mov_b32_e32 v132, v130
	v_fmac_f32_e32 v145, 0x3e9e377a, v131
	v_fmac_f32_e32 v83, 0x3e9e377a, v131
	;; [unrolled: 1-line block ×3, first 2 shown]
	v_sub_f32_e32 v131, v175, v177
	v_sub_f32_e32 v133, v172, v174
	;; [unrolled: 1-line block ×3, first 2 shown]
	v_fmac_f32_e32 v130, 0xbf737871, v123
	v_fmac_f32_e32 v132, 0x3f167918, v131
	v_add_f32_e32 v133, v133, v134
	v_fmac_f32_e32 v130, 0xbf167918, v131
	v_fmac_f32_e32 v132, 0x3e9e377a, v133
	;; [unrolled: 1-line block ×3, first 2 shown]
	v_add_f32_e32 v133, v172, v178
	v_fma_f32 v128, -0.5, v133, v128
	v_mov_b32_e32 v134, v128
	v_fmac_f32_e32 v134, 0xbf737871, v131
	v_fmac_f32_e32 v128, 0x3f737871, v131
	;; [unrolled: 1-line block ×4, first 2 shown]
	v_add_f32_e32 v123, v129, v173
	v_add_f32_e32 v123, v123, v175
	;; [unrolled: 1-line block ×5, first 2 shown]
	v_sub_f32_e32 v133, v174, v172
	v_sub_f32_e32 v135, v176, v178
	v_add_f32_e32 v147, v123, v179
	v_add_f32_e32 v123, v175, v177
	;; [unrolled: 1-line block ×4, first 2 shown]
	v_fma_f32 v131, -0.5, v123, v129
	v_fmac_f32_e32 v134, 0x3e9e377a, v133
	v_fmac_f32_e32 v128, 0x3e9e377a, v133
	v_sub_f32_e32 v123, v172, v178
	v_mov_b32_e32 v133, v131
	ds_write2_b64 v86, v[101:102], v[105:106] offset1:9
	ds_write2_b64 v86, v[107:108], v[76:77] offset0:18 offset1:27
	v_mul_u32_u24_e32 v76, 45, v89
	v_fmac_f32_e32 v133, 0xbf737871, v123
	v_sub_f32_e32 v148, v174, v176
	v_sub_f32_e32 v135, v173, v175
	;; [unrolled: 1-line block ×3, first 2 shown]
	v_fmac_f32_e32 v131, 0x3f737871, v123
	v_add_lshl_u32 v76, v76, v90, 3
	v_add_f32_e32 v118, v118, v164
	v_fmac_f32_e32 v133, 0xbf167918, v148
	v_add_f32_e32 v135, v135, v149
	v_fmac_f32_e32 v131, 0x3f167918, v148
	buffer_store_dword v86, off, s[20:23], 0 offset:260 ; 4-byte Folded Spill
	ds_write_b64 v86, v[103:104] offset:288
	ds_write2_b64 v76, v[109:110], v[113:114] offset1:9
	ds_write2_b64 v76, v[115:116], v[78:79] offset0:18 offset1:27
	buffer_store_dword v76, off, s[20:23], 0 offset:264 ; 4-byte Folded Spill
	ds_write_b64 v76, v[111:112] offset:288
	v_mul_u32_u24_e32 v76, 45, v91
	v_add_f32_e32 v117, v117, v165
	v_add_f32_e32 v118, v118, v166
	v_fmac_f32_e32 v133, 0x3e9e377a, v135
	v_fmac_f32_e32 v131, 0x3e9e377a, v135
	v_add_f32_e32 v135, v173, v179
	v_add_lshl_u32 v76, v76, v92, 3
	v_fmac_f32_e32 v129, -0.5, v135
	ds_write2_b64 v76, v[117:118], v[121:122] offset1:9
	ds_write2_b64 v76, v[136:137], v[80:81] offset0:18 offset1:27
	buffer_store_dword v76, off, s[20:23], 0 offset:268 ; 4-byte Folded Spill
	ds_write_b64 v76, v[119:120] offset:288
	v_mul_u32_u24_e32 v76, 45, v96
	v_mov_b32_e32 v135, v129
	v_add_lshl_u32 v76, v76, v97, 3
	v_fmac_f32_e32 v135, 0x3f737871, v148
	v_sub_f32_e32 v149, v175, v173
	v_sub_f32_e32 v150, v177, v179
	v_fmac_f32_e32 v129, 0xbf737871, v148
	ds_write2_b64 v76, v[138:139], v[142:143] offset1:9
	ds_write2_b64 v76, v[144:145], v[82:83] offset0:18 offset1:27
	buffer_store_dword v76, off, s[20:23], 0 offset:272 ; 4-byte Folded Spill
	ds_write_b64 v76, v[140:141] offset:288
	v_mad_legacy_u16 v76, v99, 45, v100
	v_fmac_f32_e32 v135, 0xbf167918, v123
	v_add_f32_e32 v149, v149, v150
	v_fmac_f32_e32 v129, 0x3f167918, v123
	v_lshlrev_b32_e32 v76, 3, v76
	v_fmac_f32_e32 v135, 0x3e9e377a, v149
	v_fmac_f32_e32 v129, 0x3e9e377a, v149
	ds_write2_b64 v76, v[146:147], v[132:133] offset1:9
	ds_write2_b64 v76, v[134:135], v[128:129] offset0:18 offset1:27
	buffer_store_dword v76, off, s[20:23], 0 offset:276 ; 4-byte Folded Spill
	ds_write_b64 v76, v[130:131] offset:288
	s_waitcnt lgkmcnt(0)
	; wave barrier
	s_waitcnt lgkmcnt(0)
	ds_read2_b64 v[140:143], v232 offset1:63
	ds_read2_b64 v[136:139], v232 offset0:126 offset1:225
	ds_read2_b64 v[118:121], v98 offset0:66 offset1:129
	;; [unrolled: 1-line block ×9, first 2 shown]
	ds_read_b64 v[154:155], v232 offset:11808
                                        ; implicit-def: $vgpr152
	s_and_saveexec_b64 s[14:15], s[2:3]
	s_cbranch_execz .LBB0_13
; %bb.12:
	v_add_u32_e32 v88, 0x500, v232
	ds_read2_b64 v[132:135], v88 offset0:29 offset1:254
	v_add_u32_e32 v88, 0x1380, v232
	ds_read2_b64 v[128:131], v88 offset0:15 offset1:240
	;; [unrolled: 2-line block ×3, first 2 shown]
	ds_read_b64 v[152:153], v232 offset:12312
.LBB0_13:
	s_or_b64 exec, exec, s[14:15]
	v_subrev_u32_e32 v88, 45, v233
	v_cmp_gt_u16_e32 vcc, 45, v233
	v_cndmask_b32_e32 v160, v88, v233, vcc
	v_mul_i32_i24_e32 v89, 48, v160
	v_mul_hi_i32_i24_e32 v88, 48, v160
	v_add_co_u32_e32 v96, vcc, s4, v89
	v_mov_b32_e32 v89, s5
	v_addc_co_u32_e32 v97, vcc, v89, v88, vcc
	global_load_dwordx4 v[88:91], v[96:97], off offset:368
	global_load_dwordx4 v[92:95], v[96:97], off offset:352
	s_nop 0
	global_load_dwordx4 v[96:99], v[96:97], off offset:336
	s_movk_i32 s14, 0x6d
	s_mov_b32 s16, 0x3f3bfb3b
	v_cmp_lt_u16_e32 vcc, 44, v233
	s_waitcnt vmcnt(2) lgkmcnt(5)
	v_mul_f32_e32 v170, v78, v89
	s_waitcnt vmcnt(1)
	v_mul_f32_e32 v166, v82, v93
	s_waitcnt vmcnt(0)
	v_mul_f32_e32 v100, v139, v97
	v_fma_f32 v161, v138, v96, -v100
	v_mul_f32_e32 v100, v119, v99
	v_fma_f32 v163, v118, v98, -v100
	;; [unrolled: 2-line block ×5, first 2 shown]
	s_waitcnt lgkmcnt(4)
	v_mul_f32_e32 v78, v111, v91
	v_fma_f32 v171, v110, v90, -v78
	v_mul_lo_u16_sdwa v78, v159, s14 dst_sel:DWORD dst_unused:UNUSED_PAD src0_sel:BYTE_0 src1_sel:DWORD
	v_fmac_f32_e32 v170, v79, v88
	v_sub_u16_sdwa v79, v159, v78 dst_sel:DWORD dst_unused:UNUSED_PAD src0_sel:DWORD src1_sel:BYTE_1
	v_lshrrev_b16_e32 v79, 1, v79
	v_and_b32_e32 v79, 0x7f, v79
	v_add_u16_sdwa v78, v79, v78 dst_sel:DWORD dst_unused:UNUSED_PAD src0_sel:DWORD src1_sel:BYTE_1
	v_mul_f32_e32 v162, v138, v97
	v_lshrrev_b16_e32 v138, 5, v78
	v_mul_lo_u16_e32 v78, 45, v138
	v_sub_u16_e32 v78, v159, v78
	v_fmac_f32_e32 v162, v139, v96
	v_and_b32_e32 v139, 0xff, v78
	v_mad_u64_u32 v[78:79], s[18:19], v139, 48, s[4:5]
	v_mul_f32_e32 v172, v110, v91
	v_fmac_f32_e32 v172, v111, v90
	global_load_dwordx4 v[100:103], v[78:79], off offset:368
	global_load_dwordx4 v[104:107], v[78:79], off offset:352
	global_load_dwordx4 v[108:111], v[78:79], off offset:336
	v_mul_f32_e32 v164, v118, v99
	v_mul_f32_e32 v168, v114, v95
	v_fmac_f32_e32 v164, v119, v98
	v_fmac_f32_e32 v168, v115, v94
	;; [unrolled: 1-line block ×3, first 2 shown]
	v_mul_u32_u24_e32 v138, 0x13b, v138
	v_add_lshl_u32 v235, v138, v139, 3
	s_waitcnt vmcnt(2)
	v_mul_f32_e32 v182, v112, v103
	s_waitcnt vmcnt(1) lgkmcnt(2)
	v_mul_f32_e32 v176, v144, v105
	s_waitcnt vmcnt(0)
	v_mul_f32_e32 v78, v149, v109
	v_fma_f32 v173, v148, v108, -v78
	v_mul_f32_e32 v148, v148, v109
	v_mul_f32_e32 v78, v121, v111
	v_fmac_f32_e32 v148, v149, v108
	v_fma_f32 v149, v120, v110, -v78
	v_mul_f32_e32 v78, v145, v105
	v_fma_f32 v175, v144, v104, -v78
	v_mul_f32_e32 v78, v117, v107
	v_fma_f32 v177, v116, v106, -v78
	s_waitcnt lgkmcnt(1)
	v_mul_f32_e32 v78, v85, v101
	v_fma_f32 v179, v84, v100, -v78
	v_mul_f32_e32 v78, v113, v103
	v_fma_f32 v181, v112, v102, -v78
	v_mul_lo_u16_sdwa v78, v158, s14 dst_sel:DWORD dst_unused:UNUSED_PAD src0_sel:BYTE_0 src1_sel:DWORD
	v_sub_u16_sdwa v79, v158, v78 dst_sel:DWORD dst_unused:UNUSED_PAD src0_sel:DWORD src1_sel:BYTE_1
	v_lshrrev_b16_e32 v79, 1, v79
	v_and_b32_e32 v79, 0x7f, v79
	v_add_u16_sdwa v78, v79, v78 dst_sel:DWORD dst_unused:UNUSED_PAD src0_sel:DWORD src1_sel:BYTE_1
	v_lshrrev_b16_e32 v144, 5, v78
	v_mul_lo_u16_e32 v78, 45, v144
	v_sub_u16_e32 v78, v158, v78
	v_fmac_f32_e32 v176, v145, v104
	v_and_b32_e32 v145, 0xff, v78
	v_mad_u64_u32 v[78:79], s[18:19], v145, 48, s[4:5]
	v_mul_f32_e32 v174, v120, v111
	v_mul_f32_e32 v178, v116, v107
	v_fmac_f32_e32 v174, v121, v110
	v_fmac_f32_e32 v178, v117, v106
	;; [unrolled: 1-line block ×3, first 2 shown]
	global_load_dwordx4 v[112:115], v[78:79], off offset:368
	global_load_dwordx4 v[116:119], v[78:79], off offset:352
	;; [unrolled: 1-line block ×3, first 2 shown]
	v_mul_f32_e32 v180, v84, v101
	v_fmac_f32_e32 v180, v85, v100
	s_mov_b32 s18, 0xbeae86e6
	v_mul_u32_u24_e32 v138, 0x13b, v144
	v_add_lshl_u32 v236, v138, v145, 3
	s_waitcnt vmcnt(2)
	v_mul_f32_e32 v189, v86, v113
	s_waitcnt vmcnt(1)
	v_mul_f32_e32 v186, v146, v117
	;; [unrolled: 2-line block ×3, first 2 shown]
	v_fma_f32 v183, v150, v120, -v78
	v_mul_f32_e32 v150, v150, v121
	v_mul_f32_e32 v78, v81, v123
	v_fmac_f32_e32 v150, v151, v120
	v_fma_f32 v151, v80, v122, -v78
	v_mul_f32_e32 v78, v147, v117
	v_fma_f32 v185, v146, v116, -v78
	v_mul_f32_e32 v78, v77, v119
	v_fmac_f32_e32 v186, v147, v116
	v_fma_f32 v147, v76, v118, -v78
	v_mul_f32_e32 v187, v76, v119
	v_mul_f32_e32 v76, v87, v113
	v_fma_f32 v188, v86, v112, -v76
	s_waitcnt lgkmcnt(0)
	v_mul_f32_e32 v76, v155, v115
	v_fma_f32 v190, v154, v114, -v76
	v_mul_lo_u16_sdwa v76, v157, s14 dst_sel:DWORD dst_unused:UNUSED_PAD src0_sel:BYTE_0 src1_sel:DWORD
	v_fmac_f32_e32 v187, v77, v118
	v_sub_u16_sdwa v77, v157, v76 dst_sel:DWORD dst_unused:UNUSED_PAD src0_sel:DWORD src1_sel:BYTE_1
	v_lshrrev_b16_e32 v77, 1, v77
	v_and_b32_e32 v77, 0x7f, v77
	v_add_u16_sdwa v76, v77, v76 dst_sel:DWORD dst_unused:UNUSED_PAD src0_sel:DWORD src1_sel:BYTE_1
	v_lshrrev_b16_e32 v76, 5, v76
	v_mul_lo_u16_e32 v76, 45, v76
	v_sub_u16_e32 v76, v157, v76
	v_and_b32_e32 v146, 0xff, v76
	v_mad_u64_u32 v[84:85], s[14:15], v146, 48, s[4:5]
	v_mul_f32_e32 v184, v80, v123
	buffer_store_dword v76, off, s[20:23], 0 offset:284 ; 4-byte Folded Spill
	v_fmac_f32_e32 v184, v81, v122
	v_fmac_f32_e32 v189, v87, v112
	global_load_dwordx4 v[76:79], v[84:85], off offset:368
	global_load_dwordx4 v[80:83], v[84:85], off offset:352
	s_nop 0
	global_load_dwordx4 v[84:87], v[84:85], off offset:336
	v_mul_f32_e32 v154, v154, v115
	v_fmac_f32_e32 v154, v155, v114
	s_mov_b32 s14, 0x3f5ff5aa
	s_mov_b32 s15, 0xbf3bfb3b
	s_waitcnt lgkmcnt(0)
	; wave barrier
	s_waitcnt vmcnt(2)
	v_mul_f32_e32 v192, v152, v79
	v_fmac_f32_e32 v192, v153, v78
	s_waitcnt vmcnt(0)
	v_mul_f32_e32 v155, v135, v85
	v_fma_f32 v191, v134, v84, -v155
	v_mul_f32_e32 v134, v134, v85
	v_fmac_f32_e32 v134, v135, v84
	v_mul_f32_e32 v135, v129, v87
	v_fma_f32 v135, v128, v86, -v135
	v_mul_f32_e32 v128, v128, v87
	v_fmac_f32_e32 v128, v129, v86
	;; [unrolled: 4-line block ×5, first 2 shown]
	v_mul_f32_e32 v127, v153, v79
	v_fma_f32 v127, v152, v78, -v127
	v_add_f32_e32 v152, v161, v171
	v_add_f32_e32 v153, v162, v172
	v_sub_f32_e32 v155, v161, v171
	v_sub_f32_e32 v161, v162, v172
	v_add_f32_e32 v162, v163, v169
	v_add_f32_e32 v171, v164, v170
	v_sub_f32_e32 v163, v163, v169
	v_add_f32_e32 v169, v165, v167
	v_sub_f32_e32 v165, v167, v165
	;; [unrolled: 2-line block ×4, first 2 shown]
	v_add_f32_e32 v168, v171, v153
	v_add_f32_e32 v167, v169, v167
	;; [unrolled: 1-line block ×4, first 2 shown]
	v_sub_f32_e32 v172, v162, v152
	v_sub_f32_e32 v193, v171, v153
	;; [unrolled: 1-line block ×5, first 2 shown]
	v_add_f32_e32 v195, v166, v164
	v_sub_f32_e32 v197, v166, v164
	v_add_f32_e32 v141, v141, v168
	v_mov_b32_e32 v198, v140
	v_sub_f32_e32 v153, v153, v170
	v_add_f32_e32 v194, v165, v163
	v_sub_f32_e32 v196, v165, v163
	v_sub_f32_e32 v166, v161, v166
	;; [unrolled: 1-line block ×4, first 2 shown]
	v_add_f32_e32 v161, v195, v161
	v_mul_f32_e32 v152, 0x3f4a47b2, v152
	v_mul_f32_e32 v169, 0x3d64c772, v162
	;; [unrolled: 1-line block ×4, first 2 shown]
	v_fmac_f32_e32 v198, 0xbf955555, v167
	v_mov_b32_e32 v167, v141
	v_sub_f32_e32 v165, v155, v165
	v_add_f32_e32 v155, v194, v155
	v_mul_f32_e32 v153, 0x3f4a47b2, v153
	v_mul_f32_e32 v194, 0xbf08b237, v196
	;; [unrolled: 1-line block ×3, first 2 shown]
	v_fmac_f32_e32 v167, 0xbf955555, v168
	v_fma_f32 v168, v172, s16, -v169
	v_fma_f32 v169, v193, s16, -v170
	;; [unrolled: 1-line block ×4, first 2 shown]
	v_mul_f32_e32 v197, 0x3f5ff5aa, v164
	v_fmac_f32_e32 v152, 0x3d64c772, v162
	v_fma_f32 v162, v193, s15, -v153
	v_fmac_f32_e32 v153, 0x3d64c772, v171
	v_fma_f32 v171, v163, s14, -v194
	;; [unrolled: 2-line block ×3, first 2 shown]
	v_add_f32_e32 v165, v168, v198
	v_fmac_f32_e32 v172, 0x3ee1c552, v161
	v_fmac_f32_e32 v195, 0x3eae86e6, v166
	v_fma_f32 v196, v166, s18, -v197
	v_add_f32_e32 v166, v169, v167
	v_fmac_f32_e32 v194, 0x3ee1c552, v155
	v_fmac_f32_e32 v171, 0x3ee1c552, v155
	;; [unrolled: 1-line block ×3, first 2 shown]
	v_sub_f32_e32 v163, v165, v172
	v_add_f32_e32 v165, v172, v165
	v_add_f32_e32 v155, v173, v181
	v_sub_f32_e32 v172, v173, v181
	v_add_f32_e32 v173, v149, v179
	v_add_f32_e32 v164, v171, v166
	;; [unrolled: 3-line block ×3, first 2 shown]
	v_sub_f32_e32 v149, v149, v179
	v_add_f32_e32 v179, v175, v177
	v_sub_f32_e32 v175, v177, v175
	v_add_f32_e32 v177, v173, v155
	;; [unrolled: 2-line block ×4, first 2 shown]
	v_add_f32_e32 v177, v179, v177
	v_add_f32_e32 v197, v152, v198
	;; [unrolled: 1-line block ×5, first 2 shown]
	v_fmac_f32_e32 v195, 0x3ee1c552, v161
	v_fmac_f32_e32 v196, 0x3ee1c552, v161
	v_sub_f32_e32 v148, v148, v182
	v_add_f32_e32 v178, v180, v178
	v_add_f32_e32 v142, v142, v177
	;; [unrolled: 1-line block ×3, first 2 shown]
	v_sub_f32_e32 v153, v199, v194
	v_add_f32_e32 v161, v196, v168
	v_sub_f32_e32 v162, v169, v193
	v_sub_f32_e32 v167, v168, v196
	v_add_f32_e32 v168, v193, v169
	v_sub_f32_e32 v169, v197, v195
	v_add_f32_e32 v170, v194, v199
	v_sub_f32_e32 v182, v173, v155
	v_sub_f32_e32 v193, v181, v171
	;; [unrolled: 1-line block ×6, first 2 shown]
	v_add_f32_e32 v194, v175, v149
	v_add_f32_e32 v195, v176, v174
	v_sub_f32_e32 v196, v175, v149
	v_sub_f32_e32 v197, v176, v174
	;; [unrolled: 1-line block ×4, first 2 shown]
	v_add_f32_e32 v143, v143, v178
	v_mov_b32_e32 v198, v142
	v_sub_f32_e32 v175, v172, v175
	v_sub_f32_e32 v176, v148, v176
	v_add_f32_e32 v172, v194, v172
	v_add_f32_e32 v148, v195, v148
	v_mul_f32_e32 v155, 0x3f4a47b2, v155
	v_mul_f32_e32 v171, 0x3f4a47b2, v171
	;; [unrolled: 1-line block ×8, first 2 shown]
	v_fmac_f32_e32 v198, 0xbf955555, v177
	v_mov_b32_e32 v177, v143
	v_fmac_f32_e32 v177, 0xbf955555, v178
	v_fma_f32 v178, v182, s16, -v179
	v_fma_f32 v179, v193, s16, -v180
	;; [unrolled: 1-line block ×3, first 2 shown]
	v_fmac_f32_e32 v155, 0x3d64c772, v173
	v_fma_f32 v173, v193, s15, -v171
	v_fmac_f32_e32 v171, 0x3d64c772, v181
	v_fma_f32 v181, v149, s14, -v194
	v_fma_f32 v182, v174, s14, -v195
	v_fmac_f32_e32 v195, 0x3eae86e6, v176
	v_fma_f32 v193, v175, s18, -v196
	v_fma_f32 v196, v176, s18, -v197
	v_fmac_f32_e32 v194, 0x3eae86e6, v175
	v_add_f32_e32 v155, v155, v198
	v_add_f32_e32 v175, v178, v198
	;; [unrolled: 1-line block ×5, first 2 shown]
	v_fmac_f32_e32 v195, 0x3ee1c552, v148
	v_fmac_f32_e32 v181, 0x3ee1c552, v172
	;; [unrolled: 1-line block ×4, first 2 shown]
	v_add_f32_e32 v197, v171, v177
	v_fmac_f32_e32 v194, 0x3ee1c552, v172
	v_fmac_f32_e32 v182, 0x3ee1c552, v148
	v_add_f32_e32 v148, v195, v155
	v_add_f32_e32 v171, v196, v178
	v_sub_f32_e32 v172, v179, v193
	v_add_f32_e32 v174, v181, v176
	v_sub_f32_e32 v176, v176, v181
	v_sub_f32_e32 v177, v178, v196
	v_add_f32_e32 v178, v193, v179
	v_sub_f32_e32 v179, v155, v195
	v_add_f32_e32 v155, v183, v190
	v_add_f32_e32 v181, v150, v154
	v_sub_f32_e32 v150, v150, v154
	v_add_f32_e32 v154, v151, v188
	v_sub_f32_e32 v173, v175, v182
	v_add_f32_e32 v175, v182, v175
	v_sub_f32_e32 v182, v183, v190
	v_add_f32_e32 v183, v184, v189
	v_sub_f32_e32 v151, v151, v188
	v_sub_f32_e32 v184, v184, v189
	v_add_f32_e32 v188, v185, v147
	v_add_f32_e32 v189, v186, v187
	v_sub_f32_e32 v147, v147, v185
	v_sub_f32_e32 v185, v187, v186
	v_add_f32_e32 v186, v154, v155
	v_add_f32_e32 v187, v183, v181
	;; [unrolled: 1-line block ×4, first 2 shown]
	v_sub_f32_e32 v149, v197, v194
	v_add_f32_e32 v180, v194, v197
	v_sub_f32_e32 v190, v154, v155
	v_sub_f32_e32 v155, v155, v188
	;; [unrolled: 1-line block ×6, first 2 shown]
	v_add_f32_e32 v187, v189, v187
	v_add_f32_e32 v188, v195, v150
	;; [unrolled: 1-line block ×3, first 2 shown]
	v_sub_f32_e32 v193, v183, v181
	v_sub_f32_e32 v181, v181, v189
	;; [unrolled: 1-line block ×3, first 2 shown]
	v_add_f32_e32 v194, v147, v151
	v_sub_f32_e32 v196, v147, v151
	v_sub_f32_e32 v198, v151, v182
	v_add_f32_e32 v151, v137, v187
	v_mul_f32_e32 v189, 0xbf08b237, v197
	v_mov_b32_e32 v197, v150
	v_sub_f32_e32 v147, v182, v147
	v_add_f32_e32 v182, v194, v182
	v_mul_f32_e32 v136, 0x3f4a47b2, v155
	v_mul_f32_e32 v137, 0x3f4a47b2, v181
	;; [unrolled: 1-line block ×6, first 2 shown]
	v_fmac_f32_e32 v197, 0xbf955555, v186
	v_mov_b32_e32 v186, v151
	v_mul_f32_e32 v196, 0x3f5ff5aa, v184
	v_fmac_f32_e32 v186, 0xbf955555, v187
	v_fma_f32 v155, v190, s16, -v155
	v_fma_f32 v181, v193, s16, -v181
	;; [unrolled: 1-line block ×3, first 2 shown]
	v_fmac_f32_e32 v136, 0x3d64c772, v154
	v_fma_f32 v154, v193, s15, -v137
	v_fmac_f32_e32 v137, 0x3d64c772, v183
	v_fma_f32 v190, v198, s14, -v194
	;; [unrolled: 2-line block ×4, first 2 shown]
	v_fma_f32 v195, v185, s18, -v196
	v_add_f32_e32 v136, v136, v197
	v_add_f32_e32 v137, v137, v186
	;; [unrolled: 1-line block ×6, first 2 shown]
	v_fmac_f32_e32 v194, 0x3ee1c552, v182
	v_fmac_f32_e32 v189, 0x3ee1c552, v188
	;; [unrolled: 1-line block ×6, first 2 shown]
	v_add_f32_e32 v154, v189, v136
	v_sub_f32_e32 v155, v137, v194
	v_sub_f32_e32 v182, v197, v147
	v_add_f32_e32 v184, v190, v196
	v_sub_f32_e32 v186, v196, v190
	v_add_f32_e32 v188, v147, v197
	;; [unrolled: 2-line block ×3, first 2 shown]
	v_add_f32_e32 v136, v191, v127
	v_add_f32_e32 v137, v134, v192
	v_sub_f32_e32 v127, v191, v127
	v_add_f32_e32 v147, v135, v125
	v_add_f32_e32 v191, v128, v126
	v_sub_f32_e32 v125, v135, v125
	v_sub_f32_e32 v126, v128, v126
	v_add_f32_e32 v128, v129, v131
	v_add_f32_e32 v135, v130, v124
	v_sub_f32_e32 v129, v131, v129
	;; [unrolled: 4-line block ×3, first 2 shown]
	v_sub_f32_e32 v192, v147, v136
	v_sub_f32_e32 v136, v136, v128
	;; [unrolled: 1-line block ×3, first 2 shown]
	v_add_f32_e32 v128, v128, v130
	v_add_f32_e32 v130, v135, v131
	;; [unrolled: 1-line block ×3, first 2 shown]
	v_sub_f32_e32 v183, v185, v193
	v_add_f32_e32 v185, v193, v185
	v_sub_f32_e32 v187, v187, v195
	v_sub_f32_e32 v193, v191, v137
	;; [unrolled: 1-line block ×3, first 2 shown]
	v_add_f32_e32 v194, v129, v125
	v_add_f32_e32 v195, v124, v126
	v_sub_f32_e32 v196, v129, v125
	v_sub_f32_e32 v197, v124, v126
	;; [unrolled: 1-line block ×5, first 2 shown]
	v_add_f32_e32 v124, v132, v128
	v_add_f32_e32 v125, v133, v130
	v_sub_f32_e32 v191, v135, v191
	v_sub_f32_e32 v200, v126, v134
	v_add_f32_e32 v195, v195, v134
	v_mul_f32_e32 v133, 0x3f4a47b2, v136
	v_mul_f32_e32 v134, 0x3f4a47b2, v137
	;; [unrolled: 1-line block ×4, first 2 shown]
	v_mov_b32_e32 v137, v124
	v_mov_b32_e32 v196, v125
	v_add_f32_e32 v194, v194, v127
	v_mul_f32_e32 v132, 0x3d64c772, v191
	v_mul_f32_e32 v127, 0xbf08b237, v197
	;; [unrolled: 1-line block ×4, first 2 shown]
	v_fmac_f32_e32 v137, 0xbf955555, v128
	v_fmac_f32_e32 v196, 0xbf955555, v130
	v_fma_f32 v197, v192, s16, -v131
	v_fma_f32 v192, v192, s15, -v133
	v_fmac_f32_e32 v133, 0x3d64c772, v147
	v_fma_f32 v147, v193, s15, -v134
	v_fmac_f32_e32 v134, 0x3d64c772, v191
	v_fma_f32 v201, v193, s16, -v132
	v_fma_f32 v128, v129, s14, -v126
	v_fmac_f32_e32 v126, 0x3eae86e6, v198
	v_fma_f32 v129, v200, s14, -v127
	v_fmac_f32_e32 v127, 0x3eae86e6, v199
	v_fma_f32 v131, v198, s18, -v135
	v_fma_f32 v132, v199, s18, -v136
	v_add_f32_e32 v130, v133, v137
	v_add_f32_e32 v133, v134, v196
	;; [unrolled: 1-line block ×5, first 2 shown]
	v_mov_b32_e32 v147, 0x13b
	v_add_f32_e32 v136, v201, v196
	v_fmac_f32_e32 v126, 0x3ee1c552, v194
	v_fmac_f32_e32 v127, 0x3ee1c552, v195
	;; [unrolled: 1-line block ×6, first 2 shown]
	v_cndmask_b32_e32 v147, 0, v147, vcc
	v_add_f32_e32 v222, v129, v134
	v_sub_f32_e32 v223, v136, v128
	v_sub_f32_e32 v224, v135, v132
	v_add_f32_e32 v225, v131, v137
	v_sub_f32_e32 v220, v130, v127
	v_add_f32_e32 v221, v126, v133
	v_add_lshl_u32 v234, v160, v147, 3
	ds_write2_b64 v234, v[140:141], v[152:153] offset1:45
	ds_write2_b64 v234, v[161:162], v[163:164] offset0:90 offset1:135
	ds_write2_b64 v234, v[165:166], v[167:168] offset0:180 offset1:225
	ds_write_b64 v234, v[169:170] offset:2160
	ds_write2_b64 v235, v[142:143], v[148:149] offset1:45
	ds_write2_b64 v235, v[171:172], v[173:174] offset0:90 offset1:135
	ds_write2_b64 v235, v[175:176], v[177:178] offset0:180 offset1:225
	ds_write_b64 v235, v[179:180] offset:2160
	;; [unrolled: 4-line block ×3, first 2 shown]
	s_and_saveexec_b64 s[14:15], s[2:3]
	s_cbranch_execz .LBB0_15
; %bb.14:
	v_sub_f32_e32 v138, v134, v129
	v_sub_f32_e32 v129, v137, v131
	;; [unrolled: 1-line block ×3, first 2 shown]
	v_lshlrev_b32_e32 v126, 3, v146
	v_add_f32_e32 v130, v127, v130
	v_add_u32_e32 v127, 0x2400, v126
	v_add_f32_e32 v139, v128, v136
	v_add_f32_e32 v128, v132, v135
	ds_write2_b64 v127, v[124:125], v[130:131] offset0:108 offset1:153
	v_add_u32_e32 v124, 0x2800, v126
	ds_write2_b64 v124, v[128:129], v[138:139] offset0:70 offset1:115
	ds_write2_b64 v124, v[222:223], v[224:225] offset0:160 offset1:205
	ds_write_b64 v126, v[220:221] offset:12240
.LBB0_15:
	s_or_b64 exec, exec, s[14:15]
	v_mov_b32_e32 v124, s17
	v_addc_co_u32_e64 v197, vcc, 0, v124, s[6:7]
	v_add_u32_e32 v195, 0x400, v232
	v_add_u32_e32 v191, 0x1000, v232
	;; [unrolled: 1-line block ×10, first 2 shown]
	v_lshlrev_b32_e32 v128, 5, v233
	s_waitcnt lgkmcnt(0)
	; wave barrier
	s_waitcnt lgkmcnt(0)
	ds_read2_b64 v[172:175], v232 offset1:63
	ds_read2_b64 v[164:167], v195 offset0:124 offset1:187
	ds_read2_b64 v[138:141], v191 offset0:118 offset1:181
	;; [unrolled: 1-line block ×11, first 2 shown]
	ds_read_b64 v[188:189], v232 offset:12096
	global_load_dwordx4 v[124:127], v128, s[4:5] offset:2512
	s_nop 0
	global_load_dwordx4 v[128:131], v128, s[4:5] offset:2496
	v_lshlrev_b32_e32 v136, 5, v159
	s_waitcnt vmcnt(1) lgkmcnt(8)
	v_mul_f32_e32 v207, v142, v127
	s_waitcnt vmcnt(0)
	v_mul_f32_e32 v132, v167, v129
	v_fma_f32 v231, v166, v128, -v132
	v_mul_f32_e32 v132, v139, v131
	v_fma_f32 v237, v138, v130, -v132
	v_mul_f32_e32 v132, v179, v125
	v_mul_f32_e32 v203, v138, v131
	v_fma_f32 v239, v178, v124, -v132
	v_mul_f32_e32 v132, v143, v127
	v_fmac_f32_e32 v203, v139, v130
	v_fma_f32 v242, v142, v126, -v132
	global_load_dwordx4 v[132:135], v136, s[4:5] offset:2512
	s_nop 0
	global_load_dwordx4 v[136:139], v136, s[4:5] offset:2496
	v_mul_f32_e32 v205, v178, v125
	v_fmac_f32_e32 v205, v179, v124
	v_fmac_f32_e32 v207, v143, v126
	v_mul_f32_e32 v199, v166, v129
	v_fmac_f32_e32 v199, v167, v128
	s_waitcnt vmcnt(1)
	v_mul_f32_e32 v206, v144, v135
	s_waitcnt vmcnt(0) lgkmcnt(7)
	v_mul_f32_e32 v142, v147, v137
	v_fma_f32 v211, v146, v136, -v142
	v_mul_f32_e32 v142, v141, v139
	v_fma_f32 v229, v140, v138, -v142
	v_mul_f32_e32 v200, v140, v139
	s_waitcnt lgkmcnt(6)
	v_mul_f32_e32 v140, v151, v133
	v_fma_f32 v190, v150, v132, -v140
	v_mul_f32_e32 v140, v145, v135
	v_mul_f32_e32 v179, v146, v137
	v_fma_f32 v241, v144, v134, -v140
	v_lshlrev_b32_e32 v144, 5, v158
	v_fmac_f32_e32 v179, v147, v136
	v_fmac_f32_e32 v200, v141, v138
	;; [unrolled: 1-line block ×3, first 2 shown]
	global_load_dwordx4 v[140:143], v144, s[4:5] offset:2512
	s_nop 0
	global_load_dwordx4 v[144:147], v144, s[4:5] offset:2496
	v_mul_f32_e32 v202, v150, v133
	v_fmac_f32_e32 v202, v151, v132
	s_waitcnt vmcnt(1)
	v_mul_f32_e32 v201, v152, v141
	s_waitcnt vmcnt(0)
	v_mul_f32_e32 v150, v149, v145
	v_fma_f32 v209, v148, v144, -v150
	v_mul_f32_e32 v167, v148, v145
	s_waitcnt lgkmcnt(4)
	v_mul_f32_e32 v148, v161, v147
	v_fma_f32 v210, v160, v146, -v148
	v_mul_f32_e32 v148, v153, v141
	v_fma_f32 v230, v152, v140, -v148
	s_waitcnt lgkmcnt(3)
	v_mul_f32_e32 v148, v244, v143
	v_lshlrev_b32_e32 v152, 5, v157
	v_fmac_f32_e32 v167, v149, v144
	v_fmac_f32_e32 v201, v153, v140
	v_fma_f32 v240, v243, v142, -v148
	global_load_dwordx4 v[148:151], v152, s[4:5] offset:2512
	s_nop 0
	global_load_dwordx4 v[152:155], v152, s[4:5] offset:2496
	v_mul_f32_e32 v198, v160, v147
	v_lshlrev_b32_e32 v160, 5, v156
	v_fmac_f32_e32 v198, v161, v146
	v_mul_f32_e32 v204, v243, v143
	v_fmac_f32_e32 v204, v244, v142
	s_waitcnt vmcnt(0) lgkmcnt(2)
	v_mul_f32_e32 v157, v185, v153
	v_fma_f32 v208, v184, v152, -v157
	v_mul_f32_e32 v157, v163, v155
	v_mul_f32_e32 v166, v184, v153
	v_fma_f32 v184, v162, v154, -v157
	s_waitcnt lgkmcnt(1)
	v_mul_f32_e32 v157, v181, v149
	v_fmac_f32_e32 v166, v185, v152
	v_mul_f32_e32 v178, v162, v155
	v_fma_f32 v185, v180, v148, -v157
	v_mul_f32_e32 v157, v246, v151
	v_fmac_f32_e32 v178, v163, v154
	v_fma_f32 v238, v245, v150, -v157
	global_load_dwordx4 v[156:159], v160, s[4:5] offset:2512
	s_nop 0
	global_load_dwordx4 v[160:163], v160, s[4:5] offset:2496
	v_mul_f32_e32 v180, v180, v149
	v_fmac_f32_e32 v180, v181, v148
	v_mul_f32_e32 v181, v245, v151
	v_fmac_f32_e32 v181, v246, v150
	s_movk_i32 s4, 0x3138
	s_waitcnt vmcnt(1)
	v_mul_f32_e32 v215, v182, v157
	s_waitcnt vmcnt(0)
	v_mul_f32_e32 v243, v187, v161
	v_fma_f32 v252, v186, v160, -v243
	v_mul_f32_e32 v253, v186, v161
	v_mul_f32_e32 v186, v177, v163
	;; [unrolled: 1-line block ×3, first 2 shown]
	v_fma_f32 v254, v176, v162, -v186
	v_fmac_f32_e32 v255, v177, v162
	v_mul_f32_e32 v176, v183, v157
	v_add_f32_e32 v177, v237, v239
	v_fma_f32 v214, v182, v156, -v176
	v_fma_f32 v182, -0.5, v177, v172
	s_waitcnt lgkmcnt(0)
	v_mul_f32_e32 v176, v189, v159
	v_sub_f32_e32 v177, v199, v207
	v_mov_b32_e32 v186, v182
	v_fmac_f32_e32 v253, v187, v160
	v_fmac_f32_e32 v215, v183, v156
	v_fma_f32 v216, v188, v158, -v176
	v_mul_f32_e32 v217, v188, v159
	v_fmac_f32_e32 v186, 0x3f737871, v177
	v_sub_f32_e32 v183, v203, v205
	v_sub_f32_e32 v187, v231, v237
	;; [unrolled: 1-line block ×3, first 2 shown]
	v_fmac_f32_e32 v182, 0xbf737871, v177
	v_fmac_f32_e32 v186, 0x3f167918, v183
	v_add_f32_e32 v187, v187, v188
	v_fmac_f32_e32 v182, 0xbf167918, v183
	v_fmac_f32_e32 v186, 0x3e9e377a, v187
	;; [unrolled: 1-line block ×3, first 2 shown]
	v_add_f32_e32 v187, v231, v242
	v_add_f32_e32 v176, v172, v231
	v_fma_f32 v172, -0.5, v187, v172
	v_mov_b32_e32 v188, v172
	v_fmac_f32_e32 v217, v189, v158
	v_fmac_f32_e32 v188, 0xbf737871, v183
	v_sub_f32_e32 v187, v237, v231
	v_sub_f32_e32 v189, v239, v242
	v_fmac_f32_e32 v172, 0x3f737871, v183
	v_add_f32_e32 v183, v203, v205
	v_fmac_f32_e32 v188, 0x3f167918, v177
	v_add_f32_e32 v187, v187, v189
	v_fmac_f32_e32 v172, 0xbf167918, v177
	v_fma_f32 v183, -0.5, v183, v173
	v_add_f32_e32 v176, v176, v237
	v_fmac_f32_e32 v188, 0x3e9e377a, v187
	v_fmac_f32_e32 v172, 0x3e9e377a, v187
	v_sub_f32_e32 v231, v231, v242
	v_mov_b32_e32 v187, v183
	v_add_f32_e32 v176, v176, v239
	v_fmac_f32_e32 v187, 0xbf737871, v231
	v_sub_f32_e32 v237, v237, v239
	v_sub_f32_e32 v189, v199, v203
	;; [unrolled: 1-line block ×3, first 2 shown]
	v_fmac_f32_e32 v183, 0x3f737871, v231
	v_fmac_f32_e32 v187, 0xbf167918, v237
	v_add_f32_e32 v189, v189, v239
	v_fmac_f32_e32 v183, 0x3f167918, v237
	v_fmac_f32_e32 v187, 0x3e9e377a, v189
	;; [unrolled: 1-line block ×3, first 2 shown]
	v_add_f32_e32 v189, v199, v207
	v_add_f32_e32 v177, v173, v199
	v_fma_f32 v173, -0.5, v189, v173
	v_mov_b32_e32 v189, v173
	v_add_f32_e32 v177, v177, v203
	v_fmac_f32_e32 v189, 0x3f737871, v237
	v_sub_f32_e32 v199, v203, v199
	v_sub_f32_e32 v203, v205, v207
	v_fmac_f32_e32 v173, 0xbf737871, v237
	v_fmac_f32_e32 v189, 0xbf167918, v231
	v_add_f32_e32 v199, v199, v203
	v_fmac_f32_e32 v173, 0x3f167918, v231
	v_fmac_f32_e32 v189, 0x3e9e377a, v199
	;; [unrolled: 1-line block ×3, first 2 shown]
	v_add_f32_e32 v199, v174, v211
	v_add_f32_e32 v199, v199, v229
	;; [unrolled: 1-line block ×6, first 2 shown]
	v_fma_f32 v244, -0.5, v199, v174
	v_add_f32_e32 v177, v177, v205
	v_sub_f32_e32 v199, v179, v206
	v_mov_b32_e32 v246, v244
	v_add_f32_e32 v177, v177, v207
	v_fmac_f32_e32 v246, 0x3f737871, v199
	v_sub_f32_e32 v203, v200, v202
	v_sub_f32_e32 v205, v211, v229
	;; [unrolled: 1-line block ×3, first 2 shown]
	v_fmac_f32_e32 v244, 0xbf737871, v199
	v_fmac_f32_e32 v246, 0x3f167918, v203
	v_add_f32_e32 v205, v205, v207
	v_fmac_f32_e32 v244, 0xbf167918, v203
	v_fmac_f32_e32 v246, 0x3e9e377a, v205
	;; [unrolled: 1-line block ×3, first 2 shown]
	v_add_f32_e32 v205, v211, v241
	v_fma_f32 v174, -0.5, v205, v174
	v_mov_b32_e32 v248, v174
	v_fmac_f32_e32 v248, 0xbf737871, v203
	v_fmac_f32_e32 v174, 0x3f737871, v203
	;; [unrolled: 1-line block ×4, first 2 shown]
	v_add_f32_e32 v199, v175, v179
	v_add_f32_e32 v199, v199, v200
	;; [unrolled: 1-line block ×5, first 2 shown]
	v_sub_f32_e32 v205, v229, v211
	v_sub_f32_e32 v207, v190, v241
	v_fma_f32 v245, -0.5, v199, v175
	v_add_f32_e32 v205, v205, v207
	v_sub_f32_e32 v199, v211, v241
	v_mov_b32_e32 v247, v245
	v_fmac_f32_e32 v248, 0x3e9e377a, v205
	v_fmac_f32_e32 v174, 0x3e9e377a, v205
	;; [unrolled: 1-line block ×3, first 2 shown]
	v_sub_f32_e32 v190, v229, v190
	v_sub_f32_e32 v203, v179, v200
	v_sub_f32_e32 v205, v206, v202
	v_fmac_f32_e32 v245, 0x3f737871, v199
	v_fmac_f32_e32 v247, 0xbf167918, v190
	v_add_f32_e32 v203, v203, v205
	v_fmac_f32_e32 v245, 0x3f167918, v190
	v_fmac_f32_e32 v247, 0x3e9e377a, v203
	;; [unrolled: 1-line block ×3, first 2 shown]
	v_add_f32_e32 v203, v179, v206
	v_fmac_f32_e32 v175, -0.5, v203
	v_mov_b32_e32 v249, v175
	v_fmac_f32_e32 v249, 0x3f737871, v190
	v_sub_f32_e32 v179, v200, v179
	v_sub_f32_e32 v200, v202, v206
	v_fmac_f32_e32 v175, 0xbf737871, v190
	v_fmac_f32_e32 v249, 0xbf167918, v199
	v_add_f32_e32 v179, v179, v200
	v_fmac_f32_e32 v175, 0x3f167918, v199
	v_fmac_f32_e32 v249, 0x3e9e377a, v179
	;; [unrolled: 1-line block ×3, first 2 shown]
	v_add_f32_e32 v179, v168, v209
	v_add_f32_e32 v179, v179, v210
	v_add_f32_e32 v179, v179, v230
	v_add_f32_e32 v199, v179, v240
	v_add_f32_e32 v179, v210, v230
	v_fma_f32 v202, -0.5, v179, v168
	v_sub_f32_e32 v179, v167, v204
	v_mov_b32_e32 v205, v202
	v_fmac_f32_e32 v205, 0x3f737871, v179
	v_sub_f32_e32 v190, v198, v201
	v_sub_f32_e32 v200, v209, v210
	v_sub_f32_e32 v203, v240, v230
	v_fmac_f32_e32 v202, 0xbf737871, v179
	v_fmac_f32_e32 v205, 0x3f167918, v190
	v_add_f32_e32 v200, v200, v203
	v_fmac_f32_e32 v202, 0xbf167918, v190
	v_fmac_f32_e32 v205, 0x3e9e377a, v200
	v_fmac_f32_e32 v202, 0x3e9e377a, v200
	v_add_f32_e32 v200, v209, v240
	v_fma_f32 v168, -0.5, v200, v168
	v_mov_b32_e32 v239, v168
	v_fmac_f32_e32 v239, 0xbf737871, v190
	v_fmac_f32_e32 v168, 0x3f737871, v190
	;; [unrolled: 1-line block ×4, first 2 shown]
	v_add_f32_e32 v179, v169, v167
	v_sub_f32_e32 v200, v210, v209
	v_sub_f32_e32 v203, v230, v240
	v_add_f32_e32 v179, v179, v198
	v_add_f32_e32 v200, v200, v203
	;; [unrolled: 1-line block ×3, first 2 shown]
	v_fmac_f32_e32 v239, 0x3e9e377a, v200
	v_fmac_f32_e32 v168, 0x3e9e377a, v200
	v_add_f32_e32 v200, v179, v204
	v_add_f32_e32 v179, v198, v201
	v_fma_f32 v203, -0.5, v179, v169
	v_sub_f32_e32 v179, v209, v240
	v_mov_b32_e32 v206, v203
	v_fmac_f32_e32 v206, 0xbf737871, v179
	v_sub_f32_e32 v190, v210, v230
	v_sub_f32_e32 v207, v167, v198
	;; [unrolled: 1-line block ×3, first 2 shown]
	v_fmac_f32_e32 v203, 0x3f737871, v179
	v_fmac_f32_e32 v206, 0xbf167918, v190
	v_add_f32_e32 v207, v207, v209
	v_fmac_f32_e32 v203, 0x3f167918, v190
	v_fmac_f32_e32 v206, 0x3e9e377a, v207
	;; [unrolled: 1-line block ×3, first 2 shown]
	v_add_f32_e32 v207, v167, v204
	v_fma_f32 v169, -0.5, v207, v169
	v_mov_b32_e32 v240, v169
	v_fmac_f32_e32 v240, 0x3f737871, v190
	v_sub_f32_e32 v167, v198, v167
	v_sub_f32_e32 v198, v201, v204
	v_fmac_f32_e32 v169, 0xbf737871, v190
	v_fmac_f32_e32 v240, 0xbf167918, v179
	v_add_f32_e32 v167, v167, v198
	v_fmac_f32_e32 v169, 0x3f167918, v179
	v_fmac_f32_e32 v240, 0x3e9e377a, v167
	;; [unrolled: 1-line block ×3, first 2 shown]
	v_add_f32_e32 v167, v170, v208
	v_add_f32_e32 v167, v167, v184
	;; [unrolled: 1-line block ×5, first 2 shown]
	v_fma_f32 v250, -0.5, v167, v170
	v_sub_f32_e32 v167, v166, v181
	v_mov_b32_e32 v207, v250
	v_fmac_f32_e32 v207, 0x3f737871, v167
	v_sub_f32_e32 v179, v178, v180
	v_sub_f32_e32 v190, v208, v184
	;; [unrolled: 1-line block ×3, first 2 shown]
	v_fmac_f32_e32 v250, 0xbf737871, v167
	v_fmac_f32_e32 v207, 0x3f167918, v179
	v_add_f32_e32 v190, v190, v198
	v_fmac_f32_e32 v250, 0xbf167918, v179
	v_fmac_f32_e32 v207, 0x3e9e377a, v190
	;; [unrolled: 1-line block ×3, first 2 shown]
	v_add_f32_e32 v190, v208, v238
	v_fma_f32 v170, -0.5, v190, v170
	v_mov_b32_e32 v237, v170
	v_fmac_f32_e32 v237, 0xbf737871, v179
	v_fmac_f32_e32 v170, 0x3f737871, v179
	;; [unrolled: 1-line block ×4, first 2 shown]
	v_add_f32_e32 v167, v171, v166
	v_add_f32_e32 v167, v167, v178
	;; [unrolled: 1-line block ×5, first 2 shown]
	v_fma_f32 v251, -0.5, v167, v171
	v_sub_f32_e32 v190, v184, v208
	v_sub_f32_e32 v167, v208, v238
	v_mov_b32_e32 v208, v251
	v_sub_f32_e32 v198, v185, v238
	v_fmac_f32_e32 v208, 0xbf737871, v167
	v_sub_f32_e32 v179, v184, v185
	v_sub_f32_e32 v184, v166, v178
	;; [unrolled: 1-line block ×3, first 2 shown]
	v_fmac_f32_e32 v251, 0x3f737871, v167
	v_fmac_f32_e32 v208, 0xbf167918, v179
	v_add_f32_e32 v184, v184, v185
	v_fmac_f32_e32 v251, 0x3f167918, v179
	v_fmac_f32_e32 v208, 0x3e9e377a, v184
	;; [unrolled: 1-line block ×3, first 2 shown]
	v_add_f32_e32 v184, v166, v181
	v_fmac_f32_e32 v171, -0.5, v184
	v_mov_b32_e32 v238, v171
	v_fmac_f32_e32 v238, 0x3f737871, v179
	v_fmac_f32_e32 v171, 0xbf737871, v179
	v_fmac_f32_e32 v238, 0xbf167918, v167
	v_fmac_f32_e32 v171, 0x3f167918, v167
	v_add_f32_e32 v167, v254, v214
	v_sub_f32_e32 v166, v178, v166
	v_sub_f32_e32 v178, v180, v181
	v_fma_f32 v230, -0.5, v167, v164
	v_add_f32_e32 v166, v166, v178
	v_sub_f32_e32 v167, v253, v217
	v_mov_b32_e32 v178, v230
	v_fmac_f32_e32 v178, 0x3f737871, v167
	v_sub_f32_e32 v179, v255, v215
	v_sub_f32_e32 v180, v252, v254
	v_sub_f32_e32 v181, v216, v214
	v_fmac_f32_e32 v230, 0xbf737871, v167
	v_fmac_f32_e32 v178, 0x3f167918, v179
	v_add_f32_e32 v180, v180, v181
	v_fmac_f32_e32 v230, 0xbf167918, v179
	v_fmac_f32_e32 v178, 0x3e9e377a, v180
	;; [unrolled: 1-line block ×3, first 2 shown]
	v_add_f32_e32 v180, v252, v216
	v_fmac_f32_e32 v238, 0x3e9e377a, v166
	v_fmac_f32_e32 v171, 0x3e9e377a, v166
	v_add_f32_e32 v166, v164, v252
	v_fma_f32 v164, -0.5, v180, v164
	v_mov_b32_e32 v180, v164
	v_fmac_f32_e32 v180, 0xbf737871, v179
	v_fmac_f32_e32 v164, 0x3f737871, v179
	v_add_f32_e32 v179, v255, v215
	v_sub_f32_e32 v181, v254, v252
	v_sub_f32_e32 v184, v214, v216
	v_fma_f32 v231, -0.5, v179, v165
	v_add_f32_e32 v190, v190, v198
	v_fmac_f32_e32 v180, 0x3f167918, v167
	v_add_f32_e32 v181, v181, v184
	v_fmac_f32_e32 v164, 0xbf167918, v167
	v_sub_f32_e32 v184, v252, v216
	v_mov_b32_e32 v179, v231
	v_fmac_f32_e32 v237, 0x3e9e377a, v190
	v_fmac_f32_e32 v170, 0x3e9e377a, v190
	;; [unrolled: 1-line block ×5, first 2 shown]
	v_sub_f32_e32 v185, v254, v214
	v_sub_f32_e32 v181, v253, v255
	;; [unrolled: 1-line block ×3, first 2 shown]
	v_fmac_f32_e32 v231, 0x3f737871, v184
	v_fmac_f32_e32 v179, 0xbf167918, v185
	v_add_f32_e32 v181, v181, v190
	v_fmac_f32_e32 v231, 0x3f167918, v185
	v_fmac_f32_e32 v179, 0x3e9e377a, v181
	;; [unrolled: 1-line block ×3, first 2 shown]
	v_add_f32_e32 v181, v253, v217
	v_add_f32_e32 v167, v165, v253
	v_fmac_f32_e32 v165, -0.5, v181
	v_mov_b32_e32 v181, v165
	v_add_f32_e32 v166, v166, v254
	v_add_f32_e32 v167, v167, v255
	v_fmac_f32_e32 v181, 0x3f737871, v185
	v_sub_f32_e32 v190, v255, v253
	v_sub_f32_e32 v198, v215, v217
	v_fmac_f32_e32 v165, 0xbf737871, v185
	v_add_f32_e32 v166, v166, v214
	v_add_f32_e32 v167, v167, v215
	v_fmac_f32_e32 v181, 0xbf167918, v184
	v_add_f32_e32 v190, v190, v198
	v_fmac_f32_e32 v165, 0x3f167918, v184
	v_add_f32_e32 v166, v166, v216
	v_add_f32_e32 v167, v167, v217
	v_fmac_f32_e32 v181, 0x3e9e377a, v190
	v_fmac_f32_e32 v165, 0x3e9e377a, v190
	ds_write_b64 v232, v[186:187] offset:2520
	ds_write_b64 v232, v[188:189] offset:5040
	;; [unrolled: 1-line block ×4, first 2 shown]
	ds_write2_b64 v232, v[176:177], v[242:243] offset1:63
	ds_write2_b64 v227, v[246:247], v[205:206] offset0:122 offset1:185
	ds_write2_b64 v191, v[248:249], v[239:240] offset0:181 offset1:244
	;; [unrolled: 1-line block ×5, first 2 shown]
	ds_write_b64 v232, v[237:238] offset:6552
	ds_write_b64 v232, v[170:171] offset:9072
	;; [unrolled: 1-line block ×4, first 2 shown]
	ds_write2_b64 v194, v[207:208], v[178:179] offset0:120 offset1:183
	ds_write_b64 v232, v[180:181] offset:7056
	ds_write_b64 v232, v[164:165] offset:9576
	;; [unrolled: 1-line block ×3, first 2 shown]
	v_add_co_u32_e32 v168, vcc, s4, v212
	v_addc_co_u32_e32 v169, vcc, 0, v197, vcc
	s_movk_i32 s4, 0x3000
	v_add_co_u32_e32 v170, vcc, s4, v212
	v_addc_co_u32_e32 v171, vcc, 0, v197, vcc
	s_waitcnt lgkmcnt(0)
	; wave barrier
	s_waitcnt lgkmcnt(0)
	global_load_dwordx2 v[170:171], v[170:171], off offset:312
	ds_read2_b64 v[164:167], v232 offset1:63
	s_movk_i32 s4, 0x4000
	s_waitcnt vmcnt(0) lgkmcnt(0)
	v_mul_f32_e32 v172, v165, v171
	v_mul_f32_e32 v173, v164, v171
	v_fma_f32 v172, v164, v170, -v172
	v_fmac_f32_e32 v173, v165, v170
	ds_write_b64 v232, v[172:173]
	v_add_co_u32_e32 v172, vcc, s4, v212
	v_addc_co_u32_e32 v173, vcc, 0, v197, vcc
	global_load_dwordx2 v[164:165], v[172:173], off offset:416
	ds_read2_b64 v[177:180], v191 offset0:13 offset1:76
	s_movk_i32 s4, 0x5000
	ds_read2_b64 v[181:184], v192 offset0:26 offset1:89
	s_waitcnt vmcnt(0) lgkmcnt(1)
	v_mul_f32_e32 v170, v178, v165
	v_fma_f32 v176, v177, v164, -v170
	v_add_co_u32_e32 v170, vcc, s4, v212
	v_mul_f32_e32 v177, v177, v165
	v_addc_co_u32_e32 v171, vcc, 0, v197, vcc
	v_fmac_f32_e32 v177, v178, v164
	global_load_dwordx2 v[164:165], v[170:171], off offset:520
	s_waitcnt vmcnt(0) lgkmcnt(0)
	v_mul_f32_e32 v174, v182, v165
	v_mul_f32_e32 v175, v181, v165
	v_fma_f32 v174, v181, v164, -v174
	v_fmac_f32_e32 v175, v182, v164
	global_load_dwordx2 v[164:165], v[168:169], off offset:504
	s_waitcnt vmcnt(0)
	v_mul_f32_e32 v178, v167, v165
	v_mul_f32_e32 v182, v166, v165
	v_fma_f32 v181, v166, v164, -v178
	v_fmac_f32_e32 v182, v167, v164
	global_load_dwordx2 v[164:165], v[172:173], off offset:920
	s_waitcnt vmcnt(0)
	v_mul_f32_e32 v166, v180, v165
	v_mul_f32_e32 v186, v179, v165
	v_fma_f32 v185, v179, v164, -v166
	v_fmac_f32_e32 v186, v180, v164
	global_load_dwordx2 v[164:165], v[170:171], off offset:1024
	global_load_dwordx2 v[178:179], v[168:169], off offset:1008
	s_waitcnt vmcnt(1)
	v_mul_f32_e32 v166, v184, v165
	v_mul_f32_e32 v188, v183, v165
	v_fma_f32 v187, v183, v164, -v166
	v_fmac_f32_e32 v188, v184, v164
	ds_read2_b64 v[164:167], v232 offset0:126 offset1:189
	s_waitcnt vmcnt(0) lgkmcnt(0)
	v_mul_f32_e32 v180, v165, v179
	v_mul_f32_e32 v184, v164, v179
	v_fma_f32 v183, v164, v178, -v180
	v_fmac_f32_e32 v184, v165, v178
	global_load_dwordx2 v[164:165], v[172:173], off offset:1424
	ds_write2_b64 v232, v[181:182], v[183:184] offset0:63 offset1:126
	ds_read2_b64 v[178:181], v191 offset0:139 offset1:202
	s_waitcnt vmcnt(0) lgkmcnt(0)
	v_mul_f32_e32 v182, v179, v165
	v_mul_f32_e32 v183, v178, v165
	v_fma_f32 v182, v178, v164, -v182
	v_fmac_f32_e32 v183, v179, v164
	global_load_dwordx2 v[164:165], v[170:171], off offset:1528
	ds_write2_b64 v191, v[185:186], v[182:183] offset0:76 offset1:139
	;; [unrolled: 8-line block ×3, first 2 shown]
	s_waitcnt vmcnt(0)
	v_mul_f32_e32 v178, v167, v165
	v_mul_f32_e32 v179, v166, v165
	v_fma_f32 v178, v166, v164, -v178
	v_fmac_f32_e32 v179, v167, v164
	global_load_dwordx2 v[164:165], v[172:173], off offset:1928
	s_waitcnt vmcnt(0)
	v_mul_f32_e32 v166, v181, v165
	v_mul_f32_e32 v183, v180, v165
	v_fma_f32 v182, v180, v164, -v166
	v_fmac_f32_e32 v183, v181, v164
	global_load_dwordx2 v[164:165], v[170:171], off offset:2032
	global_load_dwordx2 v[180:181], v[168:169], off offset:2016
	s_waitcnt vmcnt(1)
	v_mul_f32_e32 v166, v185, v165
	v_mul_f32_e32 v187, v184, v165
	v_fma_f32 v186, v184, v164, -v166
	v_fmac_f32_e32 v187, v185, v164
	ds_read2_b64 v[164:167], v195 offset0:124 offset1:187
	s_waitcnt vmcnt(0) lgkmcnt(0)
	v_mul_f32_e32 v184, v165, v181
	v_mul_f32_e32 v185, v164, v181
	v_fma_f32 v184, v164, v180, -v184
	v_fmac_f32_e32 v185, v165, v180
	global_load_dwordx2 v[164:165], v[172:173], off offset:2432
	ds_write2_b64 v232, v[178:179], v[184:185] offset0:189 offset1:252
	ds_read2_b64 v[178:181], v226 offset0:9 offset1:72
	s_waitcnt vmcnt(0) lgkmcnt(0)
	v_mul_f32_e32 v184, v179, v165
	v_mul_f32_e32 v185, v178, v165
	v_fma_f32 v184, v178, v164, -v184
	v_fmac_f32_e32 v185, v179, v164
	global_load_dwordx2 v[164:165], v[170:171], off offset:2536
	ds_write2_b64 v196, v[182:183], v[184:185] offset0:74 offset1:137
	ds_read2_b64 v[182:185], v228 offset0:22 offset1:85
	s_waitcnt vmcnt(0) lgkmcnt(0)
	v_mul_f32_e32 v178, v183, v165
	v_mul_f32_e32 v179, v182, v165
	v_fma_f32 v178, v182, v164, -v178
	v_fmac_f32_e32 v179, v183, v164
	v_add_u32_e32 v164, 0x2400, v232
	ds_write2_b64 v164, v[186:187], v[178:179] offset0:87 offset1:150
	global_load_dwordx2 v[164:165], v[168:169], off offset:2520
	s_waitcnt vmcnt(0)
	v_mul_f32_e32 v178, v167, v165
	v_mul_f32_e32 v183, v166, v165
	v_fma_f32 v182, v166, v164, -v178
	v_fmac_f32_e32 v183, v167, v164
	global_load_dwordx2 v[164:165], v[172:173], off offset:2936
	s_waitcnt vmcnt(0)
	v_mul_f32_e32 v166, v181, v165
	v_mul_f32_e32 v167, v180, v165
	v_fma_f32 v166, v180, v164, -v166
	v_fmac_f32_e32 v167, v181, v164
	;; [unrolled: 6-line block ×3, first 2 shown]
	global_load_dwordx2 v[164:165], v[168:169], off offset:3024
	ds_read2_b64 v[178:181], v227 offset0:122 offset1:185
	s_waitcnt vmcnt(0) lgkmcnt(0)
	v_mul_f32_e32 v184, v179, v165
	v_mul_f32_e32 v185, v178, v165
	v_fma_f32 v184, v178, v164, -v184
	v_fmac_f32_e32 v185, v179, v164
	global_load_dwordx2 v[164:165], v[172:173], off offset:3440
	ds_write2_b64 v227, v[182:183], v[184:185] offset0:59 offset1:122
	ds_read2_b64 v[182:185], v226 offset0:135 offset1:198
	s_waitcnt vmcnt(0) lgkmcnt(0)
	v_mul_f32_e32 v178, v183, v165
	v_mul_f32_e32 v179, v182, v165
	v_fma_f32 v178, v182, v164, -v178
	v_fmac_f32_e32 v179, v183, v164
	ds_write2_b64 v226, v[166:167], v[178:179] offset0:72 offset1:135
	global_load_dwordx2 v[178:179], v[170:171], off offset:3544
	ds_read2_b64 v[164:167], v228 offset0:148 offset1:211
	s_waitcnt vmcnt(0) lgkmcnt(0)
	v_mul_f32_e32 v182, v165, v179
	v_mul_f32_e32 v183, v164, v179
	v_fma_f32 v182, v164, v178, -v182
	v_fmac_f32_e32 v183, v165, v178
	global_load_dwordx2 v[164:165], v[168:169], off offset:3528
	ds_write2_b64 v228, v[186:187], v[182:183] offset0:85 offset1:148
	s_waitcnt vmcnt(0)
	v_mul_f32_e32 v178, v181, v165
	v_mul_f32_e32 v179, v180, v165
	v_fma_f32 v178, v180, v164, -v178
	v_fmac_f32_e32 v179, v181, v164
	global_load_dwordx2 v[164:165], v[172:173], off offset:3944
	ds_write2_b64 v194, v[178:179], v[176:177] offset0:57 offset1:141
	s_waitcnt vmcnt(0)
	;; [unrolled: 7-line block ×3, first 2 shown]
	v_mul_f32_e32 v170, v167, v165
	v_mul_f32_e32 v171, v166, v165
	v_fma_f32 v170, v166, v164, -v170
	v_fmac_f32_e32 v171, v167, v164
	ds_write_b64 v232, v[170:171] offset:11928
	s_and_saveexec_b64 s[4:5], s[0:1]
	s_cbranch_execz .LBB0_17
; %bb.16:
	global_load_dwordx2 v[166:167], v[168:169], off offset:4032
	ds_read_b64 v[164:165], v232 offset:4032
	s_waitcnt vmcnt(0) lgkmcnt(0)
	v_mul_f32_e32 v170, v165, v167
	v_mul_f32_e32 v171, v164, v167
	v_fma_f32 v170, v164, v166, -v170
	v_fmac_f32_e32 v171, v165, v166
	v_add_co_u32_e32 v166, vcc, 0x2000, v168
	v_addc_co_u32_e32 v167, vcc, 0, v169, vcc
	global_load_dwordx2 v[166:167], v[166:167], off offset:40
	ds_read_b64 v[164:165], v232 offset:8232
	ds_write_b64 v232, v[170:171] offset:4032
	s_waitcnt vmcnt(0) lgkmcnt(1)
	v_mul_f32_e32 v170, v165, v167
	v_mul_f32_e32 v171, v164, v167
	v_fma_f32 v170, v164, v166, -v170
	v_fmac_f32_e32 v171, v165, v166
	v_add_co_u32_e32 v166, vcc, 0x3000, v168
	v_addc_co_u32_e32 v167, vcc, 0, v169, vcc
	global_load_dwordx2 v[166:167], v[166:167], off offset:144
	ds_read_b64 v[164:165], v232 offset:12432
	ds_write_b64 v232, v[170:171] offset:8232
	s_waitcnt vmcnt(0) lgkmcnt(1)
	v_mul_f32_e32 v168, v165, v167
	v_mul_f32_e32 v169, v164, v167
	v_fma_f32 v168, v164, v166, -v168
	v_fmac_f32_e32 v169, v165, v166
	ds_write_b64 v232, v[168:169] offset:12432
.LBB0_17:
	s_or_b64 exec, exec, s[4:5]
	s_waitcnt lgkmcnt(0)
	; wave barrier
	s_waitcnt lgkmcnt(0)
	ds_read2_b64 v[176:179], v232 offset1:63
	ds_read2_b64 v[204:207], v191 offset0:13 offset1:76
	ds_read2_b64 v[208:211], v192 offset0:26 offset1:89
	;; [unrolled: 1-line block ×11, first 2 shown]
	s_and_saveexec_b64 s[4:5], s[0:1]
	s_cbranch_execz .LBB0_19
; %bb.18:
	ds_read_b64 v[230:231], v232 offset:4032
	ds_read_b64 v[222:223], v232 offset:8232
	;; [unrolled: 1-line block ×3, first 2 shown]
.LBB0_19:
	s_or_b64 exec, exec, s[4:5]
	s_waitcnt lgkmcnt(10)
	v_add_f32_e32 v214, v176, v204
	s_waitcnt lgkmcnt(9)
	v_add_f32_e32 v237, v214, v208
	v_add_f32_e32 v214, v204, v208
	v_fma_f32 v176, -0.5, v214, v176
	v_sub_f32_e32 v214, v205, v209
	v_mov_b32_e32 v239, v176
	v_fmac_f32_e32 v239, 0xbf5db3d7, v214
	v_fmac_f32_e32 v176, 0x3f5db3d7, v214
	v_add_f32_e32 v214, v177, v205
	v_add_f32_e32 v205, v205, v209
	v_fma_f32 v177, -0.5, v205, v177
	v_sub_f32_e32 v204, v204, v208
	v_mov_b32_e32 v240, v177
	v_add_f32_e32 v205, v206, v210
	v_fmac_f32_e32 v240, 0x3f5db3d7, v204
	v_fmac_f32_e32 v177, 0xbf5db3d7, v204
	v_add_f32_e32 v204, v178, v206
	v_fma_f32 v178, -0.5, v205, v178
	v_sub_f32_e32 v205, v207, v211
	v_mov_b32_e32 v208, v178
	v_fmac_f32_e32 v208, 0xbf5db3d7, v205
	v_fmac_f32_e32 v178, 0x3f5db3d7, v205
	v_add_f32_e32 v205, v179, v207
	v_add_f32_e32 v207, v207, v211
	v_fmac_f32_e32 v179, -0.5, v207
	v_add_f32_e32 v238, v214, v209
	v_sub_f32_e32 v206, v206, v210
	v_mov_b32_e32 v209, v179
	s_waitcnt lgkmcnt(6)
	v_add_f32_e32 v207, v196, v200
	v_fmac_f32_e32 v209, 0x3f5db3d7, v206
	v_fmac_f32_e32 v179, 0xbf5db3d7, v206
	v_add_f32_e32 v206, v172, v196
	v_fma_f32 v172, -0.5, v207, v172
	v_add_f32_e32 v204, v204, v210
	v_sub_f32_e32 v207, v197, v201
	v_mov_b32_e32 v210, v172
	v_fmac_f32_e32 v210, 0xbf5db3d7, v207
	v_fmac_f32_e32 v172, 0x3f5db3d7, v207
	v_add_f32_e32 v207, v173, v197
	v_add_f32_e32 v197, v197, v201
	v_fma_f32 v173, -0.5, v197, v173
	v_add_f32_e32 v205, v205, v211
	v_sub_f32_e32 v196, v196, v200
	v_mov_b32_e32 v211, v173
	v_add_f32_e32 v197, v198, v202
	v_fmac_f32_e32 v211, 0x3f5db3d7, v196
	v_fmac_f32_e32 v173, 0xbf5db3d7, v196
	v_add_f32_e32 v196, v174, v198
	v_fma_f32 v174, -0.5, v197, v174
	v_add_f32_e32 v206, v206, v200
	v_sub_f32_e32 v197, v199, v203
	v_mov_b32_e32 v200, v174
	v_fmac_f32_e32 v200, 0xbf5db3d7, v197
	v_fmac_f32_e32 v174, 0x3f5db3d7, v197
	v_add_f32_e32 v197, v175, v199
	v_add_f32_e32 v199, v199, v203
	v_fmac_f32_e32 v175, -0.5, v199
	v_add_f32_e32 v207, v207, v201
	v_sub_f32_e32 v198, v198, v202
	v_mov_b32_e32 v201, v175
	s_waitcnt lgkmcnt(3)
	v_add_f32_e32 v199, v188, v192
	v_fmac_f32_e32 v201, 0x3f5db3d7, v198
	v_fmac_f32_e32 v175, 0xbf5db3d7, v198
	v_add_f32_e32 v198, v168, v188
	v_fma_f32 v168, -0.5, v199, v168
	v_add_f32_e32 v196, v196, v202
	v_sub_f32_e32 v199, v189, v193
	v_mov_b32_e32 v202, v168
	v_fmac_f32_e32 v202, 0xbf5db3d7, v199
	v_fmac_f32_e32 v168, 0x3f5db3d7, v199
	v_add_f32_e32 v199, v169, v189
	v_add_f32_e32 v189, v189, v193
	v_fma_f32 v169, -0.5, v189, v169
	v_add_f32_e32 v197, v197, v203
	v_sub_f32_e32 v188, v188, v192
	v_mov_b32_e32 v203, v169
	v_add_f32_e32 v189, v190, v194
	v_fmac_f32_e32 v203, 0x3f5db3d7, v188
	v_fmac_f32_e32 v169, 0xbf5db3d7, v188
	v_add_f32_e32 v188, v170, v190
	v_fma_f32 v170, -0.5, v189, v170
	v_add_f32_e32 v198, v198, v192
	v_sub_f32_e32 v189, v191, v195
	v_mov_b32_e32 v192, v170
	v_fmac_f32_e32 v192, 0xbf5db3d7, v189
	v_fmac_f32_e32 v170, 0x3f5db3d7, v189
	v_add_f32_e32 v189, v171, v191
	v_add_f32_e32 v191, v191, v195
	v_fmac_f32_e32 v171, -0.5, v191
	v_add_f32_e32 v199, v199, v193
	v_sub_f32_e32 v190, v190, v194
	v_mov_b32_e32 v193, v171
	s_waitcnt lgkmcnt(0)
	v_add_f32_e32 v191, v180, v184
	v_fmac_f32_e32 v193, 0x3f5db3d7, v190
	v_fmac_f32_e32 v171, 0xbf5db3d7, v190
	v_add_f32_e32 v190, v164, v180
	v_fma_f32 v164, -0.5, v191, v164
	v_add_f32_e32 v188, v188, v194
	v_sub_f32_e32 v191, v181, v185
	v_mov_b32_e32 v194, v164
	v_fmac_f32_e32 v194, 0xbf5db3d7, v191
	v_fmac_f32_e32 v164, 0x3f5db3d7, v191
	v_add_f32_e32 v191, v165, v181
	v_add_f32_e32 v181, v181, v185
	v_fma_f32 v165, -0.5, v181, v165
	v_add_f32_e32 v189, v189, v195
	v_sub_f32_e32 v180, v180, v184
	v_mov_b32_e32 v195, v165
	v_add_f32_e32 v181, v182, v186
	v_fmac_f32_e32 v195, 0x3f5db3d7, v180
	v_fmac_f32_e32 v165, 0xbf5db3d7, v180
	v_add_f32_e32 v180, v166, v182
	v_fma_f32 v166, -0.5, v181, v166
	v_add_f32_e32 v190, v190, v184
	v_sub_f32_e32 v181, v183, v187
	v_mov_b32_e32 v184, v166
	v_fmac_f32_e32 v184, 0xbf5db3d7, v181
	v_fmac_f32_e32 v166, 0x3f5db3d7, v181
	v_add_f32_e32 v181, v167, v183
	v_add_f32_e32 v183, v183, v187
	v_fmac_f32_e32 v167, -0.5, v183
	v_add_f32_e32 v191, v191, v185
	v_sub_f32_e32 v182, v182, v186
	v_mov_b32_e32 v185, v167
	v_fmac_f32_e32 v185, 0x3f5db3d7, v182
	v_fmac_f32_e32 v167, 0xbf5db3d7, v182
	v_add_f32_e32 v182, v230, v222
	v_add_f32_e32 v228, v224, v182
	;; [unrolled: 1-line block ×3, first 2 shown]
	v_fmac_f32_e32 v230, -0.5, v182
	v_sub_f32_e32 v182, v223, v225
	v_mov_b32_e32 v226, v230
	v_fmac_f32_e32 v226, 0xbf5db3d7, v182
	v_fmac_f32_e32 v230, 0x3f5db3d7, v182
	v_add_f32_e32 v182, v231, v223
	v_add_f32_e32 v229, v225, v182
	v_add_f32_e32 v182, v225, v223
	v_fmac_f32_e32 v231, -0.5, v182
	v_sub_f32_e32 v182, v222, v224
	v_mov_b32_e32 v227, v231
	v_fmac_f32_e32 v227, 0x3f5db3d7, v182
	v_fmac_f32_e32 v231, 0xbf5db3d7, v182
	s_waitcnt lgkmcnt(0)
	; wave barrier
	buffer_load_dword v182, off, s[20:23], 0 offset:192 ; 4-byte Folded Reload
	s_waitcnt vmcnt(0)
	ds_write2_b64 v182, v[237:238], v[239:240] offset1:1
	ds_write_b64 v182, v[176:177] offset:16
	buffer_load_dword v176, off, s[20:23], 0 offset:196 ; 4-byte Folded Reload
	s_waitcnt vmcnt(0)
	ds_write2_b64 v176, v[204:205], v[208:209] offset1:1
	ds_write_b64 v176, v[178:179] offset:16
	;; [unrolled: 4-line block ×7, first 2 shown]
	buffer_load_dword v164, off, s[20:23], 0 offset:220 ; 4-byte Folded Reload
	v_add_f32_e32 v180, v180, v186
	v_add_f32_e32 v181, v181, v187
	s_waitcnt vmcnt(0)
	ds_write2_b64 v164, v[180:181], v[184:185] offset1:1
	ds_write_b64 v164, v[166:167] offset:16
	s_and_saveexec_b64 s[4:5], s[0:1]
	s_cbranch_execz .LBB0_21
; %bb.20:
	buffer_load_dword v164, off, s[20:23], 0 offset:280 ; 4-byte Folded Reload
	s_waitcnt vmcnt(0)
	v_lshlrev_b32_e32 v164, 3, v164
	ds_write2_b64 v164, v[228:229], v[226:227] offset1:1
	ds_write_b64 v164, v[230:231] offset:16
.LBB0_21:
	s_or_b64 exec, exec, s[4:5]
	v_add_u32_e32 v164, 0x1000, v232
	v_add_u32_e32 v165, 0x2000, v232
	s_waitcnt lgkmcnt(0)
	; wave barrier
	s_waitcnt lgkmcnt(0)
	ds_read2_b64 v[176:179], v232 offset1:63
	ds_read2_b64 v[208:211], v164 offset0:13 offset1:76
	ds_read2_b64 v[204:207], v165 offset0:26 offset1:89
	;; [unrolled: 1-line block ×5, first 2 shown]
	v_add_u32_e32 v164, 0x400, v232
	ds_read2_b64 v[168:171], v164 offset0:124 offset1:187
	v_add_u32_e32 v180, 0x1800, v232
	v_add_u32_e32 v181, 0x2800, v232
	;; [unrolled: 1-line block ×3, first 2 shown]
	ds_read2_b64 v[192:195], v180 offset0:9 offset1:72
	ds_read2_b64 v[188:191], v181 offset0:22 offset1:85
	;; [unrolled: 1-line block ×5, first 2 shown]
	s_and_saveexec_b64 s[4:5], s[0:1]
	s_cbranch_execz .LBB0_23
; %bb.22:
	ds_read_b64 v[228:229], v232 offset:4032
	ds_read_b64 v[226:227], v232 offset:8232
	;; [unrolled: 1-line block ×3, first 2 shown]
.LBB0_23:
	s_or_b64 exec, exec, s[4:5]
	s_waitcnt lgkmcnt(10)
	v_mul_f32_e32 v214, v5, v209
	v_mul_f32_e32 v5, v5, v208
	v_fmac_f32_e32 v214, v4, v208
	v_fma_f32 v208, v4, v209, -v5
	s_waitcnt lgkmcnt(9)
	v_mul_f32_e32 v209, v7, v205
	v_mul_f32_e32 v4, v7, v204
	v_fmac_f32_e32 v209, v6, v204
	v_fma_f32 v204, v6, v205, -v4
	v_mul_f32_e32 v205, v1, v211
	v_mul_f32_e32 v1, v1, v210
	v_fmac_f32_e32 v205, v0, v210
	v_fma_f32 v0, v0, v211, -v1
	;; [unrolled: 4-line block ×3, first 2 shown]
	s_waitcnt lgkmcnt(7)
	v_mul_f32_e32 v3, v13, v201
	v_mul_f32_e32 v4, v13, v200
	v_fmac_f32_e32 v3, v12, v200
	v_fma_f32 v200, v12, v201, -v4
	s_waitcnt lgkmcnt(6)
	v_mul_f32_e32 v201, v15, v197
	v_mul_f32_e32 v4, v15, v196
	v_fmac_f32_e32 v201, v14, v196
	v_fma_f32 v196, v14, v197, -v4
	v_mul_f32_e32 v197, v9, v203
	v_mul_f32_e32 v4, v9, v202
	v_fmac_f32_e32 v197, v8, v202
	v_fma_f32 v202, v8, v203, -v4
	v_mul_f32_e32 v203, v11, v199
	v_mul_f32_e32 v4, v11, v198
	v_add_f32_e32 v11, v208, v204
	v_fmac_f32_e32 v203, v10, v198
	v_fma_f32 v198, v10, v199, -v4
	s_waitcnt lgkmcnt(4)
	v_mul_f32_e32 v199, v21, v193
	v_mul_f32_e32 v4, v21, v192
	v_fma_f32 v11, -0.5, v11, v177
	v_fmac_f32_e32 v199, v20, v192
	v_fma_f32 v192, v20, v193, -v4
	s_waitcnt lgkmcnt(3)
	v_mul_f32_e32 v193, v23, v189
	v_mul_f32_e32 v4, v23, v188
	v_sub_f32_e32 v14, v214, v209
	v_mov_b32_e32 v13, v11
	v_add_f32_e32 v15, v205, v1
	v_fmac_f32_e32 v193, v22, v188
	v_fma_f32 v188, v22, v189, -v4
	v_mul_f32_e32 v189, v17, v195
	v_mul_f32_e32 v4, v17, v194
	v_fmac_f32_e32 v13, 0x3f5db3d7, v14
	v_fmac_f32_e32 v11, 0xbf5db3d7, v14
	v_add_f32_e32 v14, v178, v205
	v_fma_f32 v178, -0.5, v15, v178
	v_fmac_f32_e32 v189, v16, v194
	v_fma_f32 v194, v16, v195, -v4
	v_sub_f32_e32 v15, v0, v2
	v_mov_b32_e32 v16, v178
	v_fmac_f32_e32 v16, 0xbf5db3d7, v15
	v_fmac_f32_e32 v178, 0x3f5db3d7, v15
	v_add_f32_e32 v15, v179, v0
	v_add_f32_e32 v0, v0, v2
	v_fmac_f32_e32 v179, -0.5, v0
	v_sub_f32_e32 v0, v205, v1
	v_mov_b32_e32 v17, v179
	v_mul_f32_e32 v195, v19, v191
	v_mul_f32_e32 v4, v19, v190
	v_fmac_f32_e32 v17, 0x3f5db3d7, v0
	v_fmac_f32_e32 v179, 0xbf5db3d7, v0
	v_add_f32_e32 v0, v172, v3
	v_fmac_f32_e32 v195, v18, v190
	v_fma_f32 v190, v18, v191, -v4
	v_add_f32_e32 v18, v0, v201
	v_add_f32_e32 v0, v3, v201
	v_fma_f32 v20, -0.5, v0, v172
	v_sub_f32_e32 v0, v200, v196
	v_mov_b32_e32 v22, v20
	v_fmac_f32_e32 v22, 0xbf5db3d7, v0
	v_fmac_f32_e32 v20, 0x3f5db3d7, v0
	v_add_f32_e32 v0, v173, v200
	v_add_f32_e32 v19, v0, v196
	v_add_f32_e32 v0, v200, v196
	s_waitcnt lgkmcnt(1)
	v_mul_f32_e32 v191, v29, v185
	v_mul_f32_e32 v4, v29, v184
	v_fma_f32 v21, -0.5, v0, v173
	v_fmac_f32_e32 v191, v28, v184
	v_fma_f32 v184, v28, v185, -v4
	s_waitcnt lgkmcnt(0)
	v_mul_f32_e32 v185, v31, v181
	v_mul_f32_e32 v4, v31, v180
	v_sub_f32_e32 v0, v3, v201
	v_mov_b32_e32 v23, v21
	v_fmac_f32_e32 v185, v30, v180
	v_fma_f32 v180, v30, v181, -v4
	v_mul_f32_e32 v206, v25, v187
	v_mul_f32_e32 v4, v25, v186
	v_fmac_f32_e32 v23, 0x3f5db3d7, v0
	v_fmac_f32_e32 v21, 0xbf5db3d7, v0
	v_add_f32_e32 v0, v174, v197
	v_fmac_f32_e32 v206, v24, v186
	v_fma_f32 v186, v24, v187, -v4
	v_add_f32_e32 v24, v0, v203
	v_add_f32_e32 v0, v197, v203
	v_mul_f32_e32 v187, v27, v183
	v_mul_f32_e32 v4, v27, v182
	v_fma_f32 v174, -0.5, v0, v174
	v_fmac_f32_e32 v187, v26, v182
	v_fma_f32 v183, v26, v183, -v4
	v_sub_f32_e32 v0, v202, v198
	v_mov_b32_e32 v26, v174
	v_fmac_f32_e32 v26, 0xbf5db3d7, v0
	v_fmac_f32_e32 v174, 0x3f5db3d7, v0
	v_add_f32_e32 v0, v175, v202
	v_add_f32_e32 v25, v0, v198
	;; [unrolled: 1-line block ×3, first 2 shown]
	v_fmac_f32_e32 v175, -0.5, v0
	v_sub_f32_e32 v0, v197, v203
	v_mov_b32_e32 v27, v175
	v_fmac_f32_e32 v27, 0x3f5db3d7, v0
	v_fmac_f32_e32 v175, 0xbf5db3d7, v0
	v_add_f32_e32 v0, v168, v199
	v_add_f32_e32 v28, v0, v193
	;; [unrolled: 1-line block ×3, first 2 shown]
	v_mul_f32_e32 v4, v33, v227
	v_mul_f32_e32 v5, v33, v226
	v_fma_f32 v30, -0.5, v0, v168
	v_fmac_f32_e32 v4, v32, v226
	v_fma_f32 v6, v32, v227, -v5
	v_sub_f32_e32 v0, v192, v188
	v_mov_b32_e32 v32, v30
	v_fmac_f32_e32 v32, 0xbf5db3d7, v0
	v_fmac_f32_e32 v30, 0x3f5db3d7, v0
	v_add_f32_e32 v0, v169, v192
	v_add_f32_e32 v29, v0, v188
	;; [unrolled: 1-line block ×3, first 2 shown]
	v_fma_f32 v31, -0.5, v0, v169
	v_sub_f32_e32 v0, v199, v193
	v_mov_b32_e32 v33, v31
	v_mul_f32_e32 v5, v35, v231
	v_mul_f32_e32 v7, v35, v230
	v_fmac_f32_e32 v33, 0x3f5db3d7, v0
	v_fmac_f32_e32 v31, 0xbf5db3d7, v0
	v_add_f32_e32 v0, v170, v189
	v_fmac_f32_e32 v5, v34, v230
	v_fma_f32 v7, v34, v231, -v7
	v_add_f32_e32 v34, v0, v195
	v_add_f32_e32 v0, v189, v195
	v_fma_f32 v170, -0.5, v0, v170
	v_sub_f32_e32 v0, v194, v190
	v_mov_b32_e32 v168, v170
	v_fmac_f32_e32 v168, 0xbf5db3d7, v0
	v_fmac_f32_e32 v170, 0x3f5db3d7, v0
	v_add_f32_e32 v0, v171, v194
	v_add_f32_e32 v35, v0, v190
	;; [unrolled: 1-line block ×3, first 2 shown]
	v_fmac_f32_e32 v171, -0.5, v0
	v_sub_f32_e32 v0, v189, v195
	v_mov_b32_e32 v169, v171
	v_fmac_f32_e32 v169, 0x3f5db3d7, v0
	v_fmac_f32_e32 v171, 0xbf5db3d7, v0
	v_add_f32_e32 v0, v164, v191
	v_add_f32_e32 v172, v0, v185
	;; [unrolled: 1-line block ×4, first 2 shown]
	v_fma_f32 v164, -0.5, v0, v164
	v_add_f32_e32 v8, v176, v214
	v_fma_f32 v10, -0.5, v9, v176
	v_sub_f32_e32 v0, v184, v180
	v_mov_b32_e32 v176, v164
	v_fmac_f32_e32 v176, 0xbf5db3d7, v0
	v_fmac_f32_e32 v164, 0x3f5db3d7, v0
	v_add_f32_e32 v0, v165, v184
	v_add_f32_e32 v173, v0, v180
	;; [unrolled: 1-line block ×3, first 2 shown]
	v_sub_f32_e32 v9, v208, v204
	v_mov_b32_e32 v12, v10
	v_fma_f32 v165, -0.5, v0, v165
	v_fmac_f32_e32 v12, 0xbf5db3d7, v9
	v_fmac_f32_e32 v10, 0x3f5db3d7, v9
	v_add_f32_e32 v9, v177, v208
	v_sub_f32_e32 v0, v191, v185
	v_mov_b32_e32 v177, v165
	v_fmac_f32_e32 v177, 0x3f5db3d7, v0
	v_fmac_f32_e32 v165, 0xbf5db3d7, v0
	v_add_f32_e32 v0, v166, v206
	v_add_f32_e32 v180, v0, v187
	;; [unrolled: 1-line block ×3, first 2 shown]
	v_fma_f32 v166, -0.5, v0, v166
	v_sub_f32_e32 v0, v186, v183
	v_mov_b32_e32 v182, v166
	v_fmac_f32_e32 v182, 0xbf5db3d7, v0
	v_fmac_f32_e32 v166, 0x3f5db3d7, v0
	v_add_f32_e32 v0, v167, v186
	v_add_f32_e32 v181, v0, v183
	;; [unrolled: 1-line block ×3, first 2 shown]
	v_fmac_f32_e32 v167, -0.5, v0
	v_sub_f32_e32 v0, v206, v187
	v_mov_b32_e32 v183, v167
	v_fmac_f32_e32 v183, 0x3f5db3d7, v0
	v_fmac_f32_e32 v167, 0xbf5db3d7, v0
	v_add_f32_e32 v0, v5, v4
	v_add_f32_e32 v15, v15, v2
	v_fma_f32 v2, -0.5, v0, v228
	v_add_f32_e32 v14, v14, v1
	v_sub_f32_e32 v1, v6, v7
	v_mov_b32_e32 v0, v2
	v_fmac_f32_e32 v0, 0xbf5db3d7, v1
	v_fmac_f32_e32 v2, 0x3f5db3d7, v1
	v_add_f32_e32 v1, v7, v6
	v_fma_f32 v3, -0.5, v1, v229
	v_sub_f32_e32 v184, v4, v5
	v_mov_b32_e32 v1, v3
	v_fmac_f32_e32 v1, 0x3f5db3d7, v184
	v_fmac_f32_e32 v3, 0xbf5db3d7, v184
	s_waitcnt lgkmcnt(0)
	; wave barrier
	buffer_load_dword v184, off, s[20:23], 0 offset:224 ; 4-byte Folded Reload
	v_add_f32_e32 v8, v8, v209
	v_add_f32_e32 v9, v9, v204
	s_waitcnt vmcnt(0)
	ds_write2_b64 v184, v[8:9], v[12:13] offset1:3
	ds_write_b64 v184, v[10:11] offset:48
	buffer_load_dword v8, off, s[20:23], 0 offset:228 ; 4-byte Folded Reload
	s_waitcnt vmcnt(0)
	ds_write2_b64 v8, v[14:15], v[16:17] offset1:3
	ds_write_b64 v8, v[178:179] offset:48
	buffer_load_dword v8, off, s[20:23], 0 offset:232 ; 4-byte Folded Reload
	;; [unrolled: 4-line block ×7, first 2 shown]
	s_waitcnt vmcnt(0)
	ds_write2_b64 v8, v[180:181], v[182:183] offset1:3
	ds_write_b64 v8, v[166:167] offset:48
	s_and_saveexec_b64 s[4:5], s[0:1]
	s_cbranch_execz .LBB0_25
; %bb.24:
	v_add_f32_e32 v4, v228, v4
	v_add_f32_e32 v5, v5, v4
	buffer_load_dword v4, off, s[20:23], 0 offset:252 ; 4-byte Folded Reload
	v_add_f32_e32 v6, v229, v6
	v_add_f32_e32 v6, v7, v6
	s_waitcnt vmcnt(0)
	v_lshlrev_b32_e32 v4, 3, v4
	ds_write2_b64 v4, v[5:6], v[0:1] offset1:3
	ds_write_b64 v4, v[2:3] offset:48
.LBB0_25:
	s_or_b64 exec, exec, s[4:5]
	v_add_u32_e32 v4, 0x400, v232
	s_waitcnt lgkmcnt(0)
	; wave barrier
	s_waitcnt lgkmcnt(0)
	ds_read2_b64 v[4:7], v4 offset0:124 offset1:187
	v_add_u32_e32 v20, 0x1000, v232
	ds_read2_b64 v[23:26], v20 offset0:118 offset1:181
	v_add_u32_e32 v21, 0x1800, v232
	;; [unrolled: 2-line block ×4, first 2 shown]
	ds_read2_b64 v[168:171], v28 offset0:122 offset1:185
	s_waitcnt lgkmcnt(4)
	v_mul_f32_e32 v27, v41, v7
	v_add_u32_e32 v8, 0x1c00, v232
	v_fmac_f32_e32 v27, v40, v6
	v_mul_f32_e32 v6, v41, v6
	s_waitcnt lgkmcnt(3)
	v_mul_f32_e32 v18, v43, v23
	ds_read2_b64 v[10:13], v232 offset1:63
	ds_read2_b64 v[172:175], v8 offset0:112 offset1:175
	ds_read2_b64 v[14:17], v232 offset0:126 offset1:189
	v_fma_f32 v6, v40, v7, -v6
	v_fma_f32 v40, v42, v24, -v18
	s_waitcnt lgkmcnt(5)
	v_mul_f32_e32 v41, v37, v35
	v_mul_f32_e32 v18, v37, v34
	v_add_u32_e32 v29, 0x1400, v232
	v_fmac_f32_e32 v41, v36, v34
	v_fma_f32 v36, v36, v35, -v18
	s_waitcnt lgkmcnt(4)
	v_mul_f32_e32 v18, v39, v164
	ds_read2_b64 v[176:179], v29 offset0:116 offset1:179
	v_mul_f32_e32 v7, v43, v24
	v_fma_f32 v37, v38, v165, -v18
	s_waitcnt lgkmcnt(4)
	v_mul_f32_e32 v43, v49, v169
	v_mul_f32_e32 v18, v49, v168
	v_add_u32_e32 v31, 0x2800, v232
	v_fmac_f32_e32 v43, v48, v168
	v_fma_f32 v48, v48, v169, -v18
	v_mul_f32_e32 v49, v51, v26
	v_mul_f32_e32 v18, v51, v25
	ds_read2_b64 v[180:183], v31 offset0:106 offset1:169
	v_add_u32_e32 v22, 0xc00, v232
	v_fmac_f32_e32 v49, v50, v25
	v_fma_f32 v50, v50, v26, -v18
	s_waitcnt lgkmcnt(3)
	v_mul_f32_e32 v51, v45, v173
	v_mul_f32_e32 v18, v45, v172
	ds_read2_b64 v[184:187], v22 offset0:120 offset1:183
	v_mul_f32_e32 v35, v39, v165
	v_fmac_f32_e32 v51, v44, v172
	v_fma_f32 v44, v44, v173, -v18
	v_mul_f32_e32 v45, v47, v167
	v_mul_f32_e32 v18, v47, v166
	v_fmac_f32_e32 v35, v38, v164
	v_fmac_f32_e32 v45, v46, v166
	v_fma_f32 v46, v46, v167, -v18
	v_mul_f32_e32 v164, v57, v171
	v_mul_f32_e32 v18, v57, v170
	v_add_u32_e32 v30, 0x2000, v232
	v_fmac_f32_e32 v164, v56, v170
	v_fma_f32 v56, v56, v171, -v18
	s_waitcnt lgkmcnt(2)
	v_mul_f32_e32 v57, v59, v177
	v_mul_f32_e32 v18, v59, v176
	ds_read2_b64 v[188:191], v30 offset0:110 offset1:173
	ds_read_b64 v[8:9], v232 offset:12096
	v_fmac_f32_e32 v57, v58, v176
	v_fma_f32 v58, v58, v177, -v18
	v_mul_f32_e32 v59, v53, v175
	v_mul_f32_e32 v18, v53, v174
	v_fmac_f32_e32 v59, v52, v174
	v_fma_f32 v52, v52, v175, -v18
	s_waitcnt lgkmcnt(3)
	v_mul_f32_e32 v53, v55, v181
	v_mul_f32_e32 v18, v55, v180
	v_fmac_f32_e32 v53, v54, v180
	v_fma_f32 v54, v54, v181, -v18
	s_waitcnt lgkmcnt(2)
	v_mul_f32_e32 v165, v65, v185
	v_mul_f32_e32 v18, v65, v184
	v_fmac_f32_e32 v165, v64, v184
	v_fma_f32 v64, v64, v185, -v18
	v_mul_f32_e32 v65, v67, v179
	v_mul_f32_e32 v18, v67, v178
	v_fmac_f32_e32 v65, v66, v178
	v_fma_f32 v66, v66, v179, -v18
	s_waitcnt lgkmcnt(1)
	v_mul_f32_e32 v67, v61, v189
	v_mul_f32_e32 v18, v61, v188
	v_fmac_f32_e32 v67, v60, v188
	v_fma_f32 v60, v60, v189, -v18
	v_mul_f32_e32 v61, v63, v183
	v_mul_f32_e32 v18, v63, v182
	v_fmac_f32_e32 v61, v62, v182
	v_fma_f32 v62, v62, v183, -v18
	v_mul_f32_e32 v63, v73, v187
	v_mul_f32_e32 v18, v73, v186
	v_fmac_f32_e32 v63, v72, v186
	v_fma_f32 v72, v72, v187, -v18
	v_mul_f32_e32 v73, v75, v33
	v_mul_f32_e32 v18, v75, v32
	v_fmac_f32_e32 v73, v74, v32
	v_fma_f32 v74, v74, v33, -v18
	v_mul_f32_e32 v75, v69, v191
	v_mul_f32_e32 v18, v69, v190
	s_waitcnt lgkmcnt(0)
	v_mul_f32_e32 v69, v71, v9
	v_fmac_f32_e32 v69, v70, v8
	v_mul_f32_e32 v8, v71, v8
	v_fmac_f32_e32 v7, v42, v23
	v_fma_f32 v70, v70, v9, -v8
	v_add_f32_e32 v8, v10, v27
	v_add_f32_e32 v8, v8, v7
	;; [unrolled: 1-line block ×3, first 2 shown]
	v_fmac_f32_e32 v75, v68, v190
	v_fma_f32 v68, v68, v191, -v18
	v_add_f32_e32 v18, v8, v35
	v_add_f32_e32 v8, v7, v41
	v_fma_f32 v23, -0.5, v8, v10
	v_sub_f32_e32 v8, v6, v37
	v_mov_b32_e32 v25, v23
	v_fmac_f32_e32 v25, 0xbf737871, v8
	v_sub_f32_e32 v9, v40, v36
	v_sub_f32_e32 v19, v27, v7
	;; [unrolled: 1-line block ×3, first 2 shown]
	v_fmac_f32_e32 v23, 0x3f737871, v8
	v_fmac_f32_e32 v25, 0xbf167918, v9
	v_add_f32_e32 v19, v19, v24
	v_fmac_f32_e32 v23, 0x3f167918, v9
	v_fmac_f32_e32 v25, 0x3e9e377a, v19
	;; [unrolled: 1-line block ×3, first 2 shown]
	v_add_f32_e32 v19, v27, v35
	v_fma_f32 v32, -0.5, v19, v10
	v_mov_b32_e32 v34, v32
	v_fmac_f32_e32 v34, 0x3f737871, v9
	v_fmac_f32_e32 v32, 0xbf737871, v9
	;; [unrolled: 1-line block ×4, first 2 shown]
	v_add_f32_e32 v8, v11, v6
	v_add_f32_e32 v8, v8, v40
	v_sub_f32_e32 v10, v7, v27
	v_sub_f32_e32 v19, v41, v35
	v_add_f32_e32 v8, v8, v36
	v_add_f32_e32 v10, v10, v19
	;; [unrolled: 1-line block ×4, first 2 shown]
	v_fma_f32 v24, -0.5, v8, v11
	v_sub_f32_e32 v8, v27, v35
	v_mov_b32_e32 v26, v24
	v_fmac_f32_e32 v34, 0x3e9e377a, v10
	v_fmac_f32_e32 v32, 0x3e9e377a, v10
	;; [unrolled: 1-line block ×3, first 2 shown]
	v_sub_f32_e32 v7, v7, v41
	v_sub_f32_e32 v9, v6, v40
	;; [unrolled: 1-line block ×3, first 2 shown]
	v_fmac_f32_e32 v24, 0xbf737871, v8
	v_fmac_f32_e32 v26, 0x3f167918, v7
	v_add_f32_e32 v9, v9, v10
	v_fmac_f32_e32 v24, 0xbf167918, v7
	v_fmac_f32_e32 v26, 0x3e9e377a, v9
	;; [unrolled: 1-line block ×3, first 2 shown]
	v_add_f32_e32 v9, v6, v37
	v_fma_f32 v33, -0.5, v9, v11
	v_mov_b32_e32 v35, v33
	v_fmac_f32_e32 v35, 0xbf737871, v7
	v_sub_f32_e32 v6, v40, v6
	v_sub_f32_e32 v9, v36, v37
	v_fmac_f32_e32 v33, 0x3f737871, v7
	v_fmac_f32_e32 v35, 0x3f167918, v8
	v_add_f32_e32 v6, v6, v9
	v_fmac_f32_e32 v33, 0xbf167918, v8
	v_fmac_f32_e32 v35, 0x3e9e377a, v6
	;; [unrolled: 1-line block ×3, first 2 shown]
	v_add_f32_e32 v6, v12, v43
	v_add_f32_e32 v6, v6, v49
	;; [unrolled: 1-line block ×5, first 2 shown]
	v_fma_f32 v38, -0.5, v6, v12
	v_sub_f32_e32 v6, v48, v46
	v_mov_b32_e32 v40, v38
	v_fmac_f32_e32 v40, 0xbf737871, v6
	v_sub_f32_e32 v7, v50, v44
	v_sub_f32_e32 v8, v43, v49
	;; [unrolled: 1-line block ×3, first 2 shown]
	v_fmac_f32_e32 v38, 0x3f737871, v6
	v_fmac_f32_e32 v40, 0xbf167918, v7
	v_add_f32_e32 v8, v8, v9
	v_fmac_f32_e32 v38, 0x3f167918, v7
	v_fmac_f32_e32 v40, 0x3e9e377a, v8
	v_fmac_f32_e32 v38, 0x3e9e377a, v8
	v_add_f32_e32 v8, v43, v45
	v_fma_f32 v12, -0.5, v8, v12
	v_mov_b32_e32 v42, v12
	v_fmac_f32_e32 v42, 0x3f737871, v7
	v_fmac_f32_e32 v12, 0xbf737871, v7
	;; [unrolled: 1-line block ×4, first 2 shown]
	v_add_f32_e32 v6, v13, v48
	v_add_f32_e32 v6, v6, v50
	;; [unrolled: 1-line block ×5, first 2 shown]
	v_sub_f32_e32 v8, v49, v43
	v_sub_f32_e32 v9, v51, v45
	v_fma_f32 v39, -0.5, v6, v13
	v_add_f32_e32 v8, v8, v9
	v_sub_f32_e32 v6, v43, v45
	v_mov_b32_e32 v41, v39
	v_fmac_f32_e32 v42, 0x3e9e377a, v8
	v_fmac_f32_e32 v12, 0x3e9e377a, v8
	;; [unrolled: 1-line block ×3, first 2 shown]
	v_sub_f32_e32 v7, v49, v51
	v_sub_f32_e32 v8, v48, v50
	;; [unrolled: 1-line block ×3, first 2 shown]
	v_fmac_f32_e32 v39, 0xbf737871, v6
	v_fmac_f32_e32 v41, 0x3f167918, v7
	v_add_f32_e32 v8, v8, v9
	v_fmac_f32_e32 v39, 0xbf167918, v7
	v_fmac_f32_e32 v41, 0x3e9e377a, v8
	v_fmac_f32_e32 v39, 0x3e9e377a, v8
	v_add_f32_e32 v8, v48, v46
	v_fmac_f32_e32 v13, -0.5, v8
	v_mov_b32_e32 v43, v13
	v_fmac_f32_e32 v43, 0xbf737871, v7
	v_fmac_f32_e32 v13, 0x3f737871, v7
	;; [unrolled: 1-line block ×4, first 2 shown]
	v_add_f32_e32 v6, v14, v164
	v_add_f32_e32 v6, v6, v57
	;; [unrolled: 1-line block ×3, first 2 shown]
	v_sub_f32_e32 v9, v44, v46
	v_add_f32_e32 v44, v6, v53
	v_add_f32_e32 v6, v57, v59
	v_sub_f32_e32 v8, v50, v48
	v_fma_f32 v46, -0.5, v6, v14
	v_add_f32_e32 v8, v8, v9
	v_sub_f32_e32 v6, v56, v54
	v_mov_b32_e32 v48, v46
	v_fmac_f32_e32 v43, 0x3e9e377a, v8
	v_fmac_f32_e32 v13, 0x3e9e377a, v8
	;; [unrolled: 1-line block ×3, first 2 shown]
	v_sub_f32_e32 v7, v58, v52
	v_sub_f32_e32 v8, v164, v57
	;; [unrolled: 1-line block ×3, first 2 shown]
	v_fmac_f32_e32 v46, 0x3f737871, v6
	v_fmac_f32_e32 v48, 0xbf167918, v7
	v_add_f32_e32 v8, v8, v9
	v_fmac_f32_e32 v46, 0x3f167918, v7
	v_fmac_f32_e32 v48, 0x3e9e377a, v8
	;; [unrolled: 1-line block ×3, first 2 shown]
	v_add_f32_e32 v8, v164, v53
	v_fma_f32 v14, -0.5, v8, v14
	v_mov_b32_e32 v50, v14
	v_fmac_f32_e32 v50, 0x3f737871, v7
	v_fmac_f32_e32 v14, 0xbf737871, v7
	;; [unrolled: 1-line block ×4, first 2 shown]
	v_add_f32_e32 v6, v15, v56
	v_add_f32_e32 v6, v6, v58
	;; [unrolled: 1-line block ×5, first 2 shown]
	v_sub_f32_e32 v8, v57, v164
	v_sub_f32_e32 v9, v59, v53
	v_fma_f32 v47, -0.5, v6, v15
	v_add_f32_e32 v8, v8, v9
	v_sub_f32_e32 v6, v164, v53
	v_mov_b32_e32 v49, v47
	v_fmac_f32_e32 v50, 0x3e9e377a, v8
	v_fmac_f32_e32 v14, 0x3e9e377a, v8
	;; [unrolled: 1-line block ×3, first 2 shown]
	v_sub_f32_e32 v7, v57, v59
	v_sub_f32_e32 v8, v56, v58
	;; [unrolled: 1-line block ×3, first 2 shown]
	v_fmac_f32_e32 v47, 0xbf737871, v6
	v_fmac_f32_e32 v49, 0x3f167918, v7
	v_add_f32_e32 v8, v8, v9
	v_fmac_f32_e32 v47, 0xbf167918, v7
	v_fmac_f32_e32 v49, 0x3e9e377a, v8
	;; [unrolled: 1-line block ×3, first 2 shown]
	v_add_f32_e32 v8, v56, v54
	v_fma_f32 v15, -0.5, v8, v15
	v_mov_b32_e32 v51, v15
	v_fmac_f32_e32 v51, 0xbf737871, v7
	v_fmac_f32_e32 v15, 0x3f737871, v7
	;; [unrolled: 1-line block ×4, first 2 shown]
	v_add_f32_e32 v6, v16, v165
	v_add_f32_e32 v6, v6, v65
	;; [unrolled: 1-line block ×3, first 2 shown]
	v_sub_f32_e32 v9, v52, v54
	v_add_f32_e32 v52, v6, v61
	v_add_f32_e32 v6, v65, v67
	v_sub_f32_e32 v8, v58, v56
	v_fma_f32 v54, -0.5, v6, v16
	v_add_f32_e32 v8, v8, v9
	v_sub_f32_e32 v6, v64, v62
	v_mov_b32_e32 v56, v54
	v_fmac_f32_e32 v51, 0x3e9e377a, v8
	v_fmac_f32_e32 v15, 0x3e9e377a, v8
	;; [unrolled: 1-line block ×3, first 2 shown]
	v_sub_f32_e32 v7, v66, v60
	v_sub_f32_e32 v8, v165, v65
	;; [unrolled: 1-line block ×3, first 2 shown]
	v_fmac_f32_e32 v54, 0x3f737871, v6
	v_fmac_f32_e32 v56, 0xbf167918, v7
	v_add_f32_e32 v8, v8, v9
	v_fmac_f32_e32 v54, 0x3f167918, v7
	v_fmac_f32_e32 v56, 0x3e9e377a, v8
	;; [unrolled: 1-line block ×3, first 2 shown]
	v_add_f32_e32 v8, v165, v61
	v_fma_f32 v16, -0.5, v8, v16
	v_mov_b32_e32 v58, v16
	v_fmac_f32_e32 v58, 0x3f737871, v7
	v_fmac_f32_e32 v16, 0xbf737871, v7
	;; [unrolled: 1-line block ×4, first 2 shown]
	v_add_f32_e32 v6, v17, v64
	v_add_f32_e32 v6, v6, v66
	;; [unrolled: 1-line block ×5, first 2 shown]
	v_sub_f32_e32 v8, v65, v165
	v_sub_f32_e32 v9, v67, v61
	v_fma_f32 v55, -0.5, v6, v17
	v_add_f32_e32 v8, v8, v9
	v_sub_f32_e32 v6, v165, v61
	v_mov_b32_e32 v57, v55
	v_fmac_f32_e32 v58, 0x3e9e377a, v8
	v_fmac_f32_e32 v16, 0x3e9e377a, v8
	;; [unrolled: 1-line block ×3, first 2 shown]
	v_sub_f32_e32 v7, v65, v67
	v_sub_f32_e32 v8, v64, v66
	;; [unrolled: 1-line block ×3, first 2 shown]
	v_fmac_f32_e32 v55, 0xbf737871, v6
	v_fmac_f32_e32 v57, 0x3f167918, v7
	v_add_f32_e32 v8, v8, v9
	v_fmac_f32_e32 v55, 0xbf167918, v7
	v_fmac_f32_e32 v57, 0x3e9e377a, v8
	;; [unrolled: 1-line block ×3, first 2 shown]
	v_add_f32_e32 v8, v64, v62
	v_fmac_f32_e32 v17, -0.5, v8
	v_mov_b32_e32 v59, v17
	v_fmac_f32_e32 v59, 0xbf737871, v7
	v_fmac_f32_e32 v17, 0x3f737871, v7
	;; [unrolled: 1-line block ×4, first 2 shown]
	v_add_f32_e32 v6, v4, v63
	v_add_f32_e32 v6, v6, v73
	;; [unrolled: 1-line block ×3, first 2 shown]
	v_sub_f32_e32 v8, v66, v64
	v_sub_f32_e32 v9, v60, v62
	v_add_f32_e32 v60, v6, v69
	v_add_f32_e32 v6, v73, v75
	;; [unrolled: 1-line block ×3, first 2 shown]
	v_fma_f32 v6, -0.5, v6, v4
	v_fmac_f32_e32 v59, 0x3e9e377a, v8
	v_fmac_f32_e32 v17, 0x3e9e377a, v8
	v_sub_f32_e32 v7, v72, v70
	v_mov_b32_e32 v8, v6
	v_fmac_f32_e32 v8, 0xbf737871, v7
	v_sub_f32_e32 v9, v74, v68
	v_sub_f32_e32 v10, v63, v73
	;; [unrolled: 1-line block ×3, first 2 shown]
	v_fmac_f32_e32 v6, 0x3f737871, v7
	v_fmac_f32_e32 v8, 0xbf167918, v9
	v_add_f32_e32 v10, v10, v11
	v_fmac_f32_e32 v6, 0x3f167918, v9
	v_fmac_f32_e32 v8, 0x3e9e377a, v10
	;; [unrolled: 1-line block ×3, first 2 shown]
	v_add_f32_e32 v10, v63, v69
	v_fma_f32 v4, -0.5, v10, v4
	v_mov_b32_e32 v10, v4
	v_fmac_f32_e32 v10, 0x3f737871, v9
	v_fmac_f32_e32 v4, 0xbf737871, v9
	;; [unrolled: 1-line block ×4, first 2 shown]
	v_add_f32_e32 v7, v5, v72
	v_add_f32_e32 v7, v7, v74
	;; [unrolled: 1-line block ×5, first 2 shown]
	v_sub_f32_e32 v11, v73, v63
	v_sub_f32_e32 v27, v75, v69
	v_fma_f32 v7, -0.5, v7, v5
	v_add_f32_e32 v11, v11, v27
	v_sub_f32_e32 v27, v63, v69
	v_mov_b32_e32 v9, v7
	v_fmac_f32_e32 v10, 0x3e9e377a, v11
	v_fmac_f32_e32 v4, 0x3e9e377a, v11
	;; [unrolled: 1-line block ×3, first 2 shown]
	v_sub_f32_e32 v62, v73, v75
	v_sub_f32_e32 v11, v72, v74
	;; [unrolled: 1-line block ×3, first 2 shown]
	v_fmac_f32_e32 v7, 0xbf737871, v27
	v_fmac_f32_e32 v9, 0x3f167918, v62
	v_add_f32_e32 v11, v11, v63
	v_fmac_f32_e32 v7, 0xbf167918, v62
	v_fmac_f32_e32 v9, 0x3e9e377a, v11
	;; [unrolled: 1-line block ×3, first 2 shown]
	v_add_f32_e32 v11, v72, v70
	v_fmac_f32_e32 v5, -0.5, v11
	v_mov_b32_e32 v11, v5
	v_fmac_f32_e32 v11, 0xbf737871, v62
	v_fmac_f32_e32 v5, 0x3f737871, v62
	;; [unrolled: 1-line block ×4, first 2 shown]
	s_waitcnt lgkmcnt(0)
	; wave barrier
	buffer_load_dword v27, off, s[20:23], 0 offset:260 ; 4-byte Folded Reload
	s_waitcnt vmcnt(0)
	ds_write2_b64 v27, v[18:19], v[25:26] offset1:9
	ds_write2_b64 v27, v[34:35], v[32:33] offset0:18 offset1:27
	ds_write_b64 v27, v[23:24] offset:288
	buffer_load_dword v18, off, s[20:23], 0 offset:264 ; 4-byte Folded Reload
	s_waitcnt vmcnt(0)
	ds_write2_b64 v18, v[36:37], v[40:41] offset1:9
	ds_write2_b64 v18, v[42:43], v[12:13] offset0:18 offset1:27
	ds_write_b64 v18, v[38:39] offset:288
	;; [unrolled: 5-line block ×4, first 2 shown]
	buffer_load_dword v12, off, s[20:23], 0 offset:276 ; 4-byte Folded Reload
	v_sub_f32_e32 v63, v74, v72
	v_sub_f32_e32 v64, v68, v70
	v_add_f32_e32 v63, v63, v64
	v_fmac_f32_e32 v11, 0x3e9e377a, v63
	v_fmac_f32_e32 v5, 0x3e9e377a, v63
	s_waitcnt vmcnt(0)
	ds_write2_b64 v12, v[60:61], v[8:9] offset1:9
	ds_write2_b64 v12, v[10:11], v[4:5] offset0:18 offset1:27
	ds_write_b64 v12, v[6:7] offset:288
	s_waitcnt lgkmcnt(0)
	; wave barrier
	s_waitcnt lgkmcnt(0)
	ds_read2_b64 v[16:19], v232 offset1:63
	ds_read2_b64 v[12:15], v232 offset0:126 offset1:225
	ds_read2_b64 v[48:51], v22 offset0:66 offset1:129
	;; [unrolled: 1-line block ×9, first 2 shown]
	ds_read_b64 v[52:53], v232 offset:11808
	s_and_saveexec_b64 s[4:5], s[2:3]
	s_cbranch_execz .LBB0_27
; %bb.26:
	v_add_u32_e32 v0, 0x500, v232
	ds_read2_b64 v[8:11], v0 offset0:29 offset1:254
	v_add_u32_e32 v0, 0x1380, v232
	ds_read2_b64 v[4:7], v0 offset0:15 offset1:240
	;; [unrolled: 2-line block ×3, first 2 shown]
	ds_read_b64 v[220:221], v232 offset:12312
.LBB0_27:
	s_or_b64 exec, exec, s[4:5]
	s_waitcnt lgkmcnt(9)
	v_mul_f32_e32 v54, v97, v15
	v_fmac_f32_e32 v54, v96, v14
	v_mul_f32_e32 v14, v97, v14
	v_fma_f32 v14, v96, v15, -v14
	s_waitcnt lgkmcnt(8)
	v_mul_f32_e32 v15, v99, v49
	v_fmac_f32_e32 v15, v98, v48
	v_mul_f32_e32 v48, v99, v48
	v_fma_f32 v48, v98, v49, -v48
	s_waitcnt lgkmcnt(7)
	v_mul_f32_e32 v49, v93, v27
	v_fmac_f32_e32 v49, v92, v26
	v_mul_f32_e32 v26, v93, v26
	v_fma_f32 v26, v92, v27, -v26
	s_waitcnt lgkmcnt(6)
	v_mul_f32_e32 v27, v95, v45
	v_fmac_f32_e32 v27, v94, v44
	v_mul_f32_e32 v44, v95, v44
	v_fma_f32 v44, v94, v45, -v44
	s_waitcnt lgkmcnt(5)
	v_mul_f32_e32 v45, v89, v23
	v_fmac_f32_e32 v45, v88, v22
	v_mul_f32_e32 v22, v89, v22
	v_fma_f32 v22, v88, v23, -v22
	s_waitcnt lgkmcnt(4)
	v_mul_f32_e32 v23, v91, v41
	v_fmac_f32_e32 v23, v90, v40
	v_mul_f32_e32 v40, v91, v40
	v_fma_f32 v40, v90, v41, -v40
	s_waitcnt lgkmcnt(3)
	v_mul_f32_e32 v41, v109, v37
	v_fmac_f32_e32 v41, v108, v36
	v_mul_f32_e32 v36, v109, v36
	v_fma_f32 v36, v108, v37, -v36
	v_mul_f32_e32 v37, v111, v51
	v_fmac_f32_e32 v37, v110, v50
	v_mul_f32_e32 v50, v111, v50
	v_fma_f32 v50, v110, v51, -v50
	s_waitcnt lgkmcnt(2)
	v_mul_f32_e32 v51, v105, v33
	v_fmac_f32_e32 v51, v104, v32
	v_mul_f32_e32 v32, v105, v32
	v_fma_f32 v32, v104, v33, -v32
	v_mul_f32_e32 v33, v107, v47
	v_fmac_f32_e32 v33, v106, v46
	v_mul_f32_e32 v46, v107, v46
	v_mul_f32_e32 v62, v119, v21
	v_fma_f32 v46, v106, v47, -v46
	s_waitcnt lgkmcnt(1)
	v_mul_f32_e32 v47, v101, v29
	v_mul_f32_e32 v58, v123, v25
	v_fmac_f32_e32 v62, v118, v20
	v_mul_f32_e32 v20, v119, v20
	v_fmac_f32_e32 v47, v100, v28
	;; [unrolled: 2-line block ×3, first 2 shown]
	v_mul_f32_e32 v24, v123, v24
	v_fma_f32 v63, v118, v21, -v20
	v_mul_f32_e32 v20, v113, v30
	v_fma_f32 v55, v100, v29, -v28
	v_mul_f32_e32 v56, v103, v43
	v_mul_f32_e32 v28, v103, v42
	v_fma_f32 v59, v122, v25, -v24
	v_mul_f32_e32 v24, v117, v34
	v_fma_f32 v65, v112, v31, -v20
	s_waitcnt lgkmcnt(0)
	v_mul_f32_e32 v66, v115, v53
	v_mul_f32_e32 v20, v115, v52
	v_fmac_f32_e32 v56, v102, v42
	v_fma_f32 v42, v102, v43, -v28
	v_mul_f32_e32 v28, v121, v38
	v_fma_f32 v61, v116, v35, -v24
	v_mul_f32_e32 v64, v113, v31
	v_fmac_f32_e32 v66, v114, v52
	v_fma_f32 v52, v114, v53, -v20
	v_add_f32_e32 v20, v54, v23
	v_add_f32_e32 v24, v15, v45
	v_fma_f32 v57, v120, v39, -v28
	v_mul_f32_e32 v60, v117, v35
	v_fmac_f32_e32 v64, v112, v30
	v_add_f32_e32 v21, v14, v40
	v_add_f32_e32 v25, v48, v22
	v_sub_f32_e32 v22, v48, v22
	v_add_f32_e32 v28, v49, v27
	v_add_f32_e32 v29, v26, v44
	v_sub_f32_e32 v26, v44, v26
	v_add_f32_e32 v30, v24, v20
	v_mul_f32_e32 v43, v121, v39
	v_fmac_f32_e32 v60, v116, v34
	v_sub_f32_e32 v14, v14, v40
	v_sub_f32_e32 v15, v15, v45
	;; [unrolled: 1-line block ×3, first 2 shown]
	v_add_f32_e32 v31, v25, v21
	v_sub_f32_e32 v34, v24, v20
	v_sub_f32_e32 v20, v20, v28
	;; [unrolled: 1-line block ×3, first 2 shown]
	v_add_f32_e32 v39, v26, v22
	v_add_f32_e32 v28, v28, v30
	v_fmac_f32_e32 v43, v120, v38
	v_sub_f32_e32 v23, v54, v23
	v_sub_f32_e32 v35, v25, v21
	;; [unrolled: 1-line block ×4, first 2 shown]
	v_add_f32_e32 v38, v27, v15
	v_sub_f32_e32 v44, v26, v22
	v_sub_f32_e32 v26, v14, v26
	;; [unrolled: 1-line block ×3, first 2 shown]
	v_add_f32_e32 v29, v29, v31
	v_add_f32_e32 v30, v39, v14
	;; [unrolled: 1-line block ×3, first 2 shown]
	v_sub_f32_e32 v40, v27, v15
	v_sub_f32_e32 v27, v23, v27
	;; [unrolled: 1-line block ×3, first 2 shown]
	v_add_f32_e32 v23, v38, v23
	v_add_f32_e32 v15, v17, v29
	v_mul_f32_e32 v38, 0x3f08b237, v44
	v_mov_b32_e32 v44, v14
	v_mul_f32_e32 v16, 0x3f4a47b2, v20
	v_mul_f32_e32 v17, 0x3f4a47b2, v21
	;; [unrolled: 1-line block ×5, first 2 shown]
	s_mov_b32 s6, 0xbf5ff5aa
	v_mul_f32_e32 v39, 0xbf5ff5aa, v45
	v_mul_f32_e32 v40, 0xbf5ff5aa, v22
	v_fmac_f32_e32 v44, 0xbf955555, v28
	v_mov_b32_e32 v28, v15
	s_mov_b32 s7, 0x3f3bfb3b
	s_mov_b32 s14, 0xbf3bfb3b
	;; [unrolled: 1-line block ×3, first 2 shown]
	v_fmac_f32_e32 v28, 0xbf955555, v29
	v_fma_f32 v20, v34, s7, -v20
	v_fma_f32 v21, v35, s7, -v21
	;; [unrolled: 1-line block ×3, first 2 shown]
	v_fmac_f32_e32 v16, 0x3d64c772, v24
	v_fma_f32 v24, v35, s14, -v17
	v_fmac_f32_e32 v17, 0x3d64c772, v25
	v_fma_f32 v25, v45, s6, -v31
	;; [unrolled: 2-line block ×4, first 2 shown]
	v_fma_f32 v26, v26, s15, -v40
	v_add_f32_e32 v35, v16, v44
	v_add_f32_e32 v39, v17, v28
	v_add_f32_e32 v45, v21, v28
	v_add_f32_e32 v29, v29, v44
	v_add_f32_e32 v28, v24, v28
	v_fmac_f32_e32 v31, 0xbee1c552, v23
	v_fmac_f32_e32 v38, 0xbee1c552, v30
	;; [unrolled: 1-line block ×4, first 2 shown]
	v_add_f32_e32 v40, v20, v44
	v_fmac_f32_e32 v34, 0xbee1c552, v30
	v_add_f32_e32 v16, v38, v35
	v_sub_f32_e32 v17, v39, v31
	v_add_f32_e32 v20, v26, v29
	v_sub_f32_e32 v21, v28, v27
	v_sub_f32_e32 v26, v29, v26
	v_add_f32_e32 v27, v27, v28
	v_sub_f32_e32 v28, v35, v38
	v_add_f32_e32 v29, v31, v39
	v_add_f32_e32 v30, v41, v56
	;; [unrolled: 1-line block ×3, first 2 shown]
	v_sub_f32_e32 v35, v36, v42
	v_add_f32_e32 v36, v37, v47
	v_fmac_f32_e32 v25, 0xbee1c552, v23
	v_sub_f32_e32 v22, v40, v34
	v_add_f32_e32 v24, v34, v40
	v_add_f32_e32 v38, v50, v55
	v_add_f32_e32 v40, v51, v33
	v_add_f32_e32 v42, v36, v30
	v_add_f32_e32 v23, v25, v45
	v_sub_f32_e32 v25, v45, v25
	v_sub_f32_e32 v34, v41, v56
	v_add_f32_e32 v41, v32, v46
	v_add_f32_e32 v44, v38, v31
	v_sub_f32_e32 v45, v36, v30
	v_sub_f32_e32 v30, v30, v40
	;; [unrolled: 1-line block ×3, first 2 shown]
	v_add_f32_e32 v40, v40, v42
	v_sub_f32_e32 v37, v37, v47
	v_sub_f32_e32 v39, v50, v55
	;; [unrolled: 1-line block ×7, first 2 shown]
	v_add_f32_e32 v41, v41, v44
	v_add_f32_e32 v18, v18, v40
	;; [unrolled: 1-line block ×4, first 2 shown]
	v_sub_f32_e32 v49, v33, v37
	v_sub_f32_e32 v50, v32, v39
	;; [unrolled: 1-line block ×3, first 2 shown]
	v_add_f32_e32 v19, v19, v41
	v_mov_b32_e32 v51, v18
	v_sub_f32_e32 v33, v34, v33
	v_sub_f32_e32 v32, v35, v32
	;; [unrolled: 1-line block ×3, first 2 shown]
	v_add_f32_e32 v34, v47, v34
	v_add_f32_e32 v35, v48, v35
	v_mul_f32_e32 v30, 0x3f4a47b2, v30
	v_mul_f32_e32 v31, 0x3f4a47b2, v31
	;; [unrolled: 1-line block ×7, first 2 shown]
	v_fmac_f32_e32 v51, 0xbf955555, v40
	v_mov_b32_e32 v40, v19
	v_mul_f32_e32 v50, 0xbf5ff5aa, v39
	v_fmac_f32_e32 v40, 0xbf955555, v41
	v_fma_f32 v41, v45, s7, -v42
	v_fma_f32 v42, v46, s7, -v44
	;; [unrolled: 1-line block ×3, first 2 shown]
	v_fmac_f32_e32 v30, 0x3d64c772, v36
	v_fma_f32 v36, v46, s14, -v31
	v_fmac_f32_e32 v31, 0x3d64c772, v38
	v_fma_f32 v37, v37, s6, -v47
	v_fma_f32 v38, v39, s6, -v48
	v_fmac_f32_e32 v48, 0xbeae86e6, v32
	v_fma_f32 v39, v33, s15, -v49
	v_fmac_f32_e32 v47, 0xbeae86e6, v33
	v_fma_f32 v45, v32, s15, -v50
	v_add_f32_e32 v46, v30, v51
	v_add_f32_e32 v49, v31, v40
	;; [unrolled: 1-line block ×4, first 2 shown]
	v_fmac_f32_e32 v48, 0xbee1c552, v35
	v_fmac_f32_e32 v37, 0xbee1c552, v34
	;; [unrolled: 1-line block ×3, first 2 shown]
	v_add_f32_e32 v41, v41, v51
	v_add_f32_e32 v44, v44, v51
	v_fmac_f32_e32 v47, 0xbee1c552, v34
	v_fmac_f32_e32 v38, 0xbee1c552, v35
	;; [unrolled: 1-line block ×3, first 2 shown]
	v_add_f32_e32 v30, v48, v46
	v_sub_f32_e32 v33, v40, v39
	v_add_f32_e32 v35, v37, v42
	v_sub_f32_e32 v37, v42, v37
	;; [unrolled: 2-line block ×3, first 2 shown]
	v_add_f32_e32 v42, v43, v66
	v_add_f32_e32 v46, v58, v64
	v_sub_f32_e32 v31, v49, v47
	v_add_f32_e32 v32, v45, v44
	v_sub_f32_e32 v34, v41, v38
	;; [unrolled: 2-line block ×3, first 2 shown]
	v_add_f32_e32 v41, v47, v49
	v_add_f32_e32 v44, v57, v52
	v_add_f32_e32 v47, v59, v65
	v_add_f32_e32 v50, v60, v62
	v_add_f32_e32 v54, v46, v42
	v_add_f32_e32 v51, v61, v63
	v_add_f32_e32 v55, v47, v44
	v_sub_f32_e32 v56, v46, v42
	v_sub_f32_e32 v42, v42, v50
	v_sub_f32_e32 v46, v50, v46
	v_add_f32_e32 v50, v50, v54
	v_sub_f32_e32 v43, v43, v66
	v_sub_f32_e32 v45, v57, v52
	v_sub_f32_e32 v48, v58, v64
	v_sub_f32_e32 v49, v59, v65
	v_sub_f32_e32 v52, v62, v60
	v_sub_f32_e32 v53, v63, v61
	v_sub_f32_e32 v57, v47, v44
	v_sub_f32_e32 v44, v44, v51
	v_sub_f32_e32 v47, v51, v47
	v_add_f32_e32 v51, v51, v55
	v_add_f32_e32 v12, v12, v50
	;; [unrolled: 1-line block ×4, first 2 shown]
	v_sub_f32_e32 v60, v52, v48
	v_sub_f32_e32 v61, v53, v49
	;; [unrolled: 1-line block ×4, first 2 shown]
	v_add_f32_e32 v13, v13, v51
	v_mov_b32_e32 v62, v12
	v_sub_f32_e32 v52, v43, v52
	v_sub_f32_e32 v53, v45, v53
	v_add_f32_e32 v43, v58, v43
	v_add_f32_e32 v45, v59, v45
	v_mul_f32_e32 v42, 0x3f4a47b2, v42
	v_mul_f32_e32 v44, 0x3f4a47b2, v44
	;; [unrolled: 1-line block ×8, first 2 shown]
	v_fmac_f32_e32 v62, 0xbf955555, v50
	v_mov_b32_e32 v50, v13
	v_fmac_f32_e32 v50, 0xbf955555, v51
	v_fma_f32 v51, v56, s7, -v54
	v_fma_f32 v54, v57, s7, -v55
	;; [unrolled: 1-line block ×3, first 2 shown]
	v_fmac_f32_e32 v42, 0x3d64c772, v46
	v_fma_f32 v46, v57, s14, -v44
	v_fmac_f32_e32 v44, 0x3d64c772, v47
	v_fma_f32 v56, v48, s6, -v58
	;; [unrolled: 2-line block ×4, first 2 shown]
	v_fma_f32 v53, v53, s15, -v61
	v_add_f32_e32 v57, v42, v62
	v_add_f32_e32 v60, v44, v50
	;; [unrolled: 1-line block ×6, first 2 shown]
	v_fmac_f32_e32 v58, 0xbee1c552, v43
	v_fmac_f32_e32 v59, 0xbee1c552, v45
	;; [unrolled: 1-line block ×6, first 2 shown]
	v_add_f32_e32 v42, v59, v57
	v_sub_f32_e32 v43, v60, v58
	v_add_f32_e32 v44, v53, v54
	v_sub_f32_e32 v45, v55, v52
	v_sub_f32_e32 v46, v49, v48
	v_add_f32_e32 v47, v56, v51
	v_add_f32_e32 v48, v48, v49
	v_sub_f32_e32 v49, v51, v56
	v_sub_f32_e32 v50, v54, v53
	v_add_f32_e32 v51, v52, v55
	v_sub_f32_e32 v52, v57, v59
	v_add_f32_e32 v53, v58, v60
	s_waitcnt lgkmcnt(0)
	; wave barrier
	ds_write2_b64 v234, v[14:15], v[16:17] offset1:45
	ds_write2_b64 v234, v[20:21], v[22:23] offset0:90 offset1:135
	ds_write2_b64 v234, v[24:25], v[26:27] offset0:180 offset1:225
	ds_write_b64 v234, v[28:29] offset:2160
	ds_write2_b64 v235, v[18:19], v[30:31] offset1:45
	ds_write2_b64 v235, v[32:33], v[34:35] offset0:90 offset1:135
	ds_write2_b64 v235, v[36:37], v[38:39] offset0:180 offset1:225
	ds_write_b64 v235, v[40:41] offset:2160
	;; [unrolled: 4-line block ×3, first 2 shown]
	s_and_saveexec_b64 s[4:5], s[2:3]
	s_cbranch_execz .LBB0_29
; %bb.28:
	v_mul_f32_e32 v12, v85, v11
	v_mul_f32_e32 v15, v83, v1
	;; [unrolled: 1-line block ×3, first 2 shown]
	v_fmac_f32_e32 v12, v84, v10
	v_fmac_f32_e32 v15, v82, v0
	;; [unrolled: 1-line block ×3, first 2 shown]
	v_mul_f32_e32 v24, v79, v220
	v_mul_f32_e32 v10, v85, v10
	v_mul_f32_e32 v6, v81, v6
	v_mul_f32_e32 v0, v83, v0
	v_fma_f32 v24, v78, v221, -v24
	v_fma_f32 v10, v84, v11, -v10
	;; [unrolled: 1-line block ×4, first 2 shown]
	v_add_f32_e32 v11, v24, v10
	v_add_f32_e32 v0, v6, v7
	v_sub_f32_e32 v1, v11, v0
	v_mul_f32_e32 v20, v77, v3
	v_mul_f32_e32 v25, 0x3f4a47b2, v1
	;; [unrolled: 1-line block ×4, first 2 shown]
	v_fmac_f32_e32 v20, v76, v2
	v_fma_f32 v2, v76, v3, -v1
	v_mul_f32_e32 v1, v87, v4
	v_fmac_f32_e32 v19, v86, v4
	v_fma_f32 v4, v86, v5, -v1
	v_add_f32_e32 v5, v2, v4
	v_sub_f32_e32 v1, v0, v5
	v_mov_b32_e32 v3, v25
	v_mul_f32_e32 v26, 0x3d64c772, v1
	v_fmac_f32_e32 v3, 0x3d64c772, v1
	v_add_f32_e32 v1, v5, v11
	v_add_f32_e32 v0, v0, v1
	v_mul_f32_e32 v13, v79, v221
	v_add_f32_e32 v1, v9, v0
	v_fmac_f32_e32 v13, v78, v220
	v_mov_b32_e32 v9, v1
	v_sub_f32_e32 v14, v12, v13
	v_fmac_f32_e32 v9, 0xbf955555, v0
	v_add_f32_e32 v12, v13, v12
	v_add_f32_e32 v0, v16, v15
	v_sub_f32_e32 v13, v12, v0
	v_sub_f32_e32 v17, v15, v16
	v_mul_f32_e32 v13, 0x3f4a47b2, v13
	v_add_f32_e32 v15, v20, v19
	v_sub_f32_e32 v21, v19, v20
	v_sub_f32_e32 v16, v0, v15
	v_mov_b32_e32 v20, v13
	v_mul_f32_e32 v19, 0x3d64c772, v16
	v_fmac_f32_e32 v20, 0x3d64c772, v16
	v_add_f32_e32 v16, v15, v12
	v_add_f32_e32 v16, v0, v16
	;; [unrolled: 1-line block ×3, first 2 shown]
	v_mov_b32_e32 v8, v0
	v_sub_f32_e32 v6, v7, v6
	v_sub_f32_e32 v4, v4, v2
	v_fmac_f32_e32 v8, 0xbf955555, v16
	v_sub_f32_e32 v2, v6, v4
	v_add_f32_e32 v16, v20, v8
	v_sub_f32_e32 v10, v10, v24
	v_mul_f32_e32 v20, 0x3f08b237, v2
	v_add_f32_e32 v2, v6, v4
	v_sub_f32_e32 v7, v10, v6
	v_add_f32_e32 v6, v2, v10
	v_sub_f32_e32 v10, v4, v10
	v_mov_b32_e32 v24, v20
	v_mul_f32_e32 v4, 0xbf5ff5aa, v10
	v_fmac_f32_e32 v24, 0xbeae86e6, v7
	v_sub_f32_e32 v12, v15, v12
	v_fma_f32 v15, v7, s15, -v4
	v_fma_f32 v10, v10, s6, -v20
	v_fmac_f32_e32 v24, 0xbee1c552, v6
	v_fma_f32 v13, v12, s14, -v13
	v_fmac_f32_e32 v15, 0xbee1c552, v6
	v_fmac_f32_e32 v10, 0xbee1c552, v6
	v_fma_f32 v6, v12, s7, -v19
	v_add_f32_e32 v13, v13, v8
	v_add_f32_e32 v8, v6, v8
	v_sub_f32_e32 v4, v13, v15
	v_add_f32_e32 v6, v10, v8
	v_sub_f32_e32 v8, v8, v10
	v_add_f32_e32 v10, v15, v13
	buffer_load_dword v15, off, s[20:23], 0 offset:284 ; 4-byte Folded Reload
	v_sub_f32_e32 v22, v17, v21
	v_sub_f32_e32 v18, v14, v17
	v_mul_f32_e32 v22, 0x3f08b237, v22
	v_add_f32_e32 v17, v17, v21
	v_mov_b32_e32 v23, v22
	v_add_f32_e32 v17, v17, v14
	v_sub_f32_e32 v14, v21, v14
	v_sub_f32_e32 v11, v5, v11
	v_fmac_f32_e32 v23, 0xbeae86e6, v18
	v_mul_f32_e32 v21, 0xbf5ff5aa, v14
	v_fma_f32 v5, v11, s14, -v25
	v_fma_f32 v7, v11, s7, -v26
	;; [unrolled: 1-line block ×3, first 2 shown]
	v_mov_b32_e32 v14, 3
	v_fmac_f32_e32 v23, 0xbee1c552, v17
	v_add_f32_e32 v27, v3, v9
	v_fma_f32 v18, v18, s15, -v21
	v_fmac_f32_e32 v18, 0xbee1c552, v17
	v_add_f32_e32 v21, v5, v9
	v_add_f32_e32 v9, v7, v9
	v_fmac_f32_e32 v11, 0xbee1c552, v17
	v_sub_f32_e32 v13, v27, v23
	v_add_f32_e32 v12, v24, v16
	v_sub_f32_e32 v7, v9, v11
	v_add_f32_e32 v9, v11, v9
	;; [unrolled: 2-line block ×4, first 2 shown]
	s_waitcnt vmcnt(0)
	v_lshlrev_b32_sdwa v14, v14, v15 dst_sel:DWORD dst_unused:UNUSED_PAD src0_sel:DWORD src1_sel:BYTE_0
	v_add_u32_e32 v15, 0x2400, v14
	ds_write2_b64 v15, v[0:1], v[12:13] offset0:108 offset1:153
	v_add_u32_e32 v0, 0x2800, v14
	ds_write2_b64 v0, v[10:11], v[8:9] offset0:70 offset1:115
	ds_write2_b64 v0, v[6:7], v[4:5] offset0:160 offset1:205
	ds_write_b64 v14, v[2:3] offset:12240
.LBB0_29:
	s_or_b64 exec, exec, s[4:5]
	v_add_u32_e32 v17, 0x400, v232
	buffer_load_dword v87, off, s[20:23], 0 offset:160 ; 4-byte Folded Reload
	buffer_load_dword v88, off, s[20:23], 0 offset:164 ; 4-byte Folded Reload
	s_waitcnt lgkmcnt(0)
	; wave barrier
	s_waitcnt lgkmcnt(0)
	ds_read2_b64 v[0:3], v17 offset0:124 offset1:187
	v_add_u32_e32 v18, 0x1000, v232
	ds_read2_b64 v[22:25], v18 offset0:118 offset1:181
	v_add_u32_e32 v15, 0x1800, v232
	;; [unrolled: 2-line block ×4, first 2 shown]
	ds_read2_b64 v[34:37], v16 offset0:122 offset1:185
	s_waitcnt lgkmcnt(4)
	v_mul_f32_e32 v60, v129, v3
	v_fmac_f32_e32 v60, v128, v2
	v_mul_f32_e32 v2, v129, v2
	v_add_u32_e32 v21, 0x1c00, v232
	v_fma_f32 v61, v128, v3, -v2
	s_waitcnt lgkmcnt(3)
	v_mul_f32_e32 v2, v131, v22
	ds_read2_b64 v[4:7], v232 offset1:63
	ds_read2_b64 v[38:41], v21 offset0:112 offset1:175
	ds_read2_b64 v[8:11], v232 offset0:126 offset1:189
	v_fma_f32 v63, v130, v23, -v2
	s_waitcnt lgkmcnt(5)
	v_mul_f32_e32 v64, v125, v29
	v_mul_f32_e32 v2, v125, v28
	v_add_u32_e32 v14, 0x1400, v232
	v_fmac_f32_e32 v64, v124, v28
	v_fma_f32 v28, v124, v29, -v2
	s_waitcnt lgkmcnt(4)
	v_mul_f32_e32 v29, v127, v31
	v_mul_f32_e32 v2, v127, v30
	ds_read2_b64 v[42:45], v14 offset0:116 offset1:179
	v_fmac_f32_e32 v29, v126, v30
	v_fma_f32 v30, v126, v31, -v2
	s_waitcnt lgkmcnt(4)
	v_mul_f32_e32 v2, v137, v34
	v_add_u32_e32 v14, 0x2800, v232
	v_fma_f32 v66, v136, v35, -v2
	v_mul_f32_e32 v2, v139, v24
	ds_read2_b64 v[46:49], v14 offset0:106 offset1:169
	v_add_u32_e32 v20, 0xc00, v232
	v_fma_f32 v67, v138, v25, -v2
	s_waitcnt lgkmcnt(3)
	v_mul_f32_e32 v68, v133, v39
	v_mul_f32_e32 v2, v133, v38
	ds_read2_b64 v[50:53], v20 offset0:120 offset1:183
	v_fmac_f32_e32 v68, v132, v38
	v_fma_f32 v38, v132, v39, -v2
	v_mul_f32_e32 v2, v135, v32
	v_fma_f32 v69, v134, v33, -v2
	v_mul_f32_e32 v2, v145, v36
	v_add_u32_e32 v19, 0x2000, v232
	v_fma_f32 v71, v144, v37, -v2
	s_waitcnt lgkmcnt(2)
	v_mul_f32_e32 v2, v147, v42
	ds_read2_b64 v[54:57], v19 offset0:110 offset1:173
	ds_read_b64 v[58:59], v232 offset:12096
	v_fma_f32 v73, v146, v43, -v2
	v_mul_f32_e32 v2, v141, v40
	v_mul_f32_e32 v72, v147, v43
	;; [unrolled: 1-line block ×3, first 2 shown]
	v_fma_f32 v74, v140, v41, -v2
	s_waitcnt lgkmcnt(3)
	v_mul_f32_e32 v41, v143, v47
	v_mul_f32_e32 v2, v143, v46
	;; [unrolled: 1-line block ×3, first 2 shown]
	v_fmac_f32_e32 v41, v142, v46
	v_fma_f32 v46, v142, v47, -v2
	s_waitcnt lgkmcnt(2)
	v_mul_f32_e32 v2, v153, v50
	v_fmac_f32_e32 v62, v130, v22
	v_fma_f32 v76, v152, v51, -v2
	v_mul_f32_e32 v2, v155, v44
	v_fma_f32 v77, v154, v45, -v2
	s_waitcnt lgkmcnt(1)
	v_mul_f32_e32 v78, v149, v55
	v_mul_f32_e32 v2, v149, v54
	v_add_f32_e32 v3, v62, v64
	v_mul_f32_e32 v65, v137, v35
	v_mul_f32_e32 v35, v139, v25
	v_fmac_f32_e32 v78, v148, v54
	v_fma_f32 v54, v148, v55, -v2
	v_mul_f32_e32 v2, v151, v48
	v_fma_f32 v22, -0.5, v3, v4
	v_fmac_f32_e32 v35, v138, v24
	v_fma_f32 v79, v150, v49, -v2
	v_mul_f32_e32 v2, v161, v52
	v_mul_f32_e32 v82, v163, v27
	v_sub_f32_e32 v3, v61, v30
	v_mov_b32_e32 v24, v22
	v_fma_f32 v81, v160, v53, -v2
	v_fmac_f32_e32 v82, v162, v26
	v_mul_f32_e32 v2, v163, v26
	v_fmac_f32_e32 v24, 0xbf737871, v3
	v_sub_f32_e32 v23, v63, v28
	v_sub_f32_e32 v25, v60, v62
	;; [unrolled: 1-line block ×3, first 2 shown]
	v_fmac_f32_e32 v22, 0x3f737871, v3
	v_fma_f32 v83, v162, v27, -v2
	v_mul_f32_e32 v2, v157, v56
	v_fmac_f32_e32 v24, 0xbf167918, v23
	v_add_f32_e32 v25, v25, v26
	v_fmac_f32_e32 v22, 0x3f167918, v23
	v_fma_f32 v85, v156, v57, -v2
	s_waitcnt lgkmcnt(0)
	v_mul_f32_e32 v2, v159, v58
	v_fmac_f32_e32 v24, 0x3e9e377a, v25
	v_fmac_f32_e32 v22, 0x3e9e377a, v25
	v_add_f32_e32 v25, v60, v29
	v_fma_f32 v86, v158, v59, -v2
	v_add_f32_e32 v2, v4, v60
	v_fma_f32 v4, -0.5, v25, v4
	v_mov_b32_e32 v26, v4
	v_add_f32_e32 v2, v2, v62
	v_fmac_f32_e32 v26, 0x3f737871, v23
	v_sub_f32_e32 v25, v62, v60
	v_sub_f32_e32 v27, v64, v29
	v_fmac_f32_e32 v4, 0xbf737871, v23
	v_add_f32_e32 v23, v63, v28
	v_add_f32_e32 v2, v2, v64
	v_fmac_f32_e32 v26, 0xbf167918, v3
	v_add_f32_e32 v25, v25, v27
	v_fmac_f32_e32 v4, 0x3f167918, v3
	v_fma_f32 v23, -0.5, v23, v5
	v_mul_f32_e32 v39, v135, v33
	v_add_f32_e32 v2, v2, v29
	v_fmac_f32_e32 v26, 0x3e9e377a, v25
	v_fmac_f32_e32 v4, 0x3e9e377a, v25
	v_sub_f32_e32 v29, v60, v29
	v_mov_b32_e32 v25, v23
	v_fmac_f32_e32 v39, v134, v32
	v_fmac_f32_e32 v25, 0x3f737871, v29
	v_sub_f32_e32 v31, v62, v64
	v_sub_f32_e32 v27, v61, v63
	;; [unrolled: 1-line block ×3, first 2 shown]
	v_fmac_f32_e32 v23, 0xbf737871, v29
	v_fmac_f32_e32 v25, 0x3f167918, v31
	v_add_f32_e32 v27, v27, v32
	v_fmac_f32_e32 v23, 0xbf167918, v31
	v_fmac_f32_e32 v25, 0x3e9e377a, v27
	;; [unrolled: 1-line block ×3, first 2 shown]
	v_add_f32_e32 v27, v61, v30
	v_add_f32_e32 v3, v5, v61
	v_fma_f32 v5, -0.5, v27, v5
	v_mov_b32_e32 v27, v5
	v_add_f32_e32 v3, v3, v63
	v_fmac_f32_e32 v27, 0xbf737871, v31
	v_fmac_f32_e32 v5, 0x3f737871, v31
	v_add_f32_e32 v3, v3, v28
	v_fmac_f32_e32 v27, 0x3f167918, v29
	v_fmac_f32_e32 v5, 0xbf167918, v29
	v_add_f32_e32 v29, v35, v68
	v_add_f32_e32 v3, v3, v30
	v_sub_f32_e32 v32, v63, v61
	v_sub_f32_e32 v28, v28, v30
	v_fma_f32 v30, -0.5, v29, v6
	v_fmac_f32_e32 v65, v136, v34
	v_add_f32_e32 v28, v32, v28
	v_sub_f32_e32 v29, v66, v69
	v_mov_b32_e32 v32, v30
	v_fmac_f32_e32 v32, 0xbf737871, v29
	v_sub_f32_e32 v31, v67, v38
	v_sub_f32_e32 v33, v65, v35
	;; [unrolled: 1-line block ×3, first 2 shown]
	v_fmac_f32_e32 v30, 0x3f737871, v29
	v_fmac_f32_e32 v32, 0xbf167918, v31
	v_add_f32_e32 v33, v33, v34
	v_fmac_f32_e32 v30, 0x3f167918, v31
	v_fmac_f32_e32 v32, 0x3e9e377a, v33
	;; [unrolled: 1-line block ×3, first 2 shown]
	v_add_f32_e32 v33, v65, v39
	v_fmac_f32_e32 v27, 0x3e9e377a, v28
	v_fmac_f32_e32 v5, 0x3e9e377a, v28
	v_add_f32_e32 v28, v6, v65
	v_fma_f32 v6, -0.5, v33, v6
	v_mul_f32_e32 v70, v145, v37
	v_mov_b32_e32 v34, v6
	v_fmac_f32_e32 v70, v144, v36
	v_fmac_f32_e32 v34, 0x3f737871, v31
	v_sub_f32_e32 v33, v35, v65
	v_sub_f32_e32 v36, v68, v39
	v_fmac_f32_e32 v6, 0xbf737871, v31
	v_add_f32_e32 v31, v67, v38
	v_add_f32_e32 v28, v28, v35
	v_fmac_f32_e32 v34, 0xbf167918, v29
	v_add_f32_e32 v33, v33, v36
	v_fmac_f32_e32 v6, 0x3f167918, v29
	v_fma_f32 v31, -0.5, v31, v7
	v_add_f32_e32 v28, v28, v68
	v_fmac_f32_e32 v34, 0x3e9e377a, v33
	v_fmac_f32_e32 v6, 0x3e9e377a, v33
	v_sub_f32_e32 v36, v65, v39
	v_mov_b32_e32 v33, v31
	v_add_f32_e32 v28, v28, v39
	v_fmac_f32_e32 v33, 0x3f737871, v36
	v_sub_f32_e32 v37, v35, v68
	v_sub_f32_e32 v35, v66, v67
	v_sub_f32_e32 v39, v69, v38
	v_fmac_f32_e32 v31, 0xbf737871, v36
	v_fmac_f32_e32 v33, 0x3f167918, v37
	v_add_f32_e32 v35, v35, v39
	v_fmac_f32_e32 v31, 0xbf167918, v37
	v_fmac_f32_e32 v33, 0x3e9e377a, v35
	v_fmac_f32_e32 v31, 0x3e9e377a, v35
	v_add_f32_e32 v35, v66, v69
	v_add_f32_e32 v29, v7, v66
	v_fmac_f32_e32 v7, -0.5, v35
	v_add_f32_e32 v29, v29, v67
	v_mov_b32_e32 v35, v7
	v_fmac_f32_e32 v72, v146, v42
	v_fmac_f32_e32 v43, v140, v40
	v_add_f32_e32 v29, v29, v38
	v_fmac_f32_e32 v35, 0xbf737871, v37
	v_sub_f32_e32 v39, v67, v66
	v_sub_f32_e32 v38, v38, v69
	v_fmac_f32_e32 v7, 0x3f737871, v37
	v_fmac_f32_e32 v35, 0x3f167918, v36
	v_add_f32_e32 v38, v39, v38
	v_fmac_f32_e32 v7, 0xbf167918, v36
	v_add_f32_e32 v37, v72, v43
	v_fmac_f32_e32 v35, 0x3e9e377a, v38
	v_fmac_f32_e32 v7, 0x3e9e377a, v38
	v_fma_f32 v38, -0.5, v37, v8
	v_mul_f32_e32 v75, v153, v51
	v_mul_f32_e32 v51, v155, v45
	v_sub_f32_e32 v37, v71, v46
	v_mov_b32_e32 v40, v38
	v_fmac_f32_e32 v51, v154, v44
	v_fmac_f32_e32 v40, 0xbf737871, v37
	v_sub_f32_e32 v39, v73, v74
	v_sub_f32_e32 v42, v70, v72
	;; [unrolled: 1-line block ×3, first 2 shown]
	v_fmac_f32_e32 v38, 0x3f737871, v37
	v_fmac_f32_e32 v40, 0xbf167918, v39
	v_add_f32_e32 v42, v42, v44
	v_fmac_f32_e32 v38, 0x3f167918, v39
	v_fmac_f32_e32 v40, 0x3e9e377a, v42
	;; [unrolled: 1-line block ×3, first 2 shown]
	v_add_f32_e32 v42, v70, v41
	v_add_f32_e32 v36, v8, v70
	v_fma_f32 v8, -0.5, v42, v8
	v_mov_b32_e32 v42, v8
	v_add_f32_e32 v36, v36, v72
	v_fmac_f32_e32 v42, 0x3f737871, v39
	v_sub_f32_e32 v44, v72, v70
	v_sub_f32_e32 v45, v43, v41
	v_fmac_f32_e32 v8, 0xbf737871, v39
	v_add_f32_e32 v39, v73, v74
	v_add_f32_e32 v36, v36, v43
	v_fmac_f32_e32 v42, 0xbf167918, v37
	v_add_f32_e32 v44, v44, v45
	v_fmac_f32_e32 v8, 0x3f167918, v37
	v_fma_f32 v39, -0.5, v39, v9
	v_add_f32_e32 v36, v36, v41
	v_fmac_f32_e32 v42, 0x3e9e377a, v44
	v_fmac_f32_e32 v8, 0x3e9e377a, v44
	v_sub_f32_e32 v44, v70, v41
	v_mov_b32_e32 v41, v39
	v_fmac_f32_e32 v41, 0x3f737871, v44
	v_sub_f32_e32 v45, v72, v43
	v_sub_f32_e32 v43, v71, v73
	v_sub_f32_e32 v47, v46, v74
	v_fmac_f32_e32 v39, 0xbf737871, v44
	v_fmac_f32_e32 v41, 0x3f167918, v45
	v_add_f32_e32 v43, v43, v47
	v_fmac_f32_e32 v39, 0xbf167918, v45
	v_add_f32_e32 v37, v9, v71
	v_fmac_f32_e32 v41, 0x3e9e377a, v43
	v_fmac_f32_e32 v39, 0x3e9e377a, v43
	v_add_f32_e32 v43, v71, v46
	v_add_f32_e32 v37, v37, v73
	v_fma_f32 v9, -0.5, v43, v9
	v_add_f32_e32 v37, v37, v74
	v_mov_b32_e32 v43, v9
	v_add_f32_e32 v37, v37, v46
	v_fmac_f32_e32 v43, 0xbf737871, v45
	v_sub_f32_e32 v47, v73, v71
	v_sub_f32_e32 v46, v74, v46
	v_fmac_f32_e32 v9, 0x3f737871, v45
	v_fmac_f32_e32 v43, 0x3f167918, v44
	v_add_f32_e32 v46, v47, v46
	v_fmac_f32_e32 v9, 0xbf167918, v44
	v_add_f32_e32 v45, v51, v78
	v_mul_f32_e32 v55, v151, v49
	v_fmac_f32_e32 v43, 0x3e9e377a, v46
	v_fmac_f32_e32 v9, 0x3e9e377a, v46
	v_fma_f32 v46, -0.5, v45, v10
	v_fmac_f32_e32 v75, v152, v50
	v_fmac_f32_e32 v55, v150, v48
	v_sub_f32_e32 v45, v76, v79
	v_mov_b32_e32 v48, v46
	v_fmac_f32_e32 v48, 0xbf737871, v45
	v_sub_f32_e32 v47, v77, v54
	v_sub_f32_e32 v49, v75, v51
	;; [unrolled: 1-line block ×3, first 2 shown]
	v_fmac_f32_e32 v46, 0x3f737871, v45
	v_fmac_f32_e32 v48, 0xbf167918, v47
	v_add_f32_e32 v49, v49, v50
	v_fmac_f32_e32 v46, 0x3f167918, v47
	v_fmac_f32_e32 v48, 0x3e9e377a, v49
	v_fmac_f32_e32 v46, 0x3e9e377a, v49
	v_add_f32_e32 v49, v75, v55
	v_add_f32_e32 v44, v10, v75
	v_fma_f32 v10, -0.5, v49, v10
	v_mul_f32_e32 v80, v161, v53
	v_mov_b32_e32 v50, v10
	v_fmac_f32_e32 v80, v160, v52
	v_fmac_f32_e32 v50, 0x3f737871, v47
	v_sub_f32_e32 v49, v51, v75
	v_sub_f32_e32 v52, v78, v55
	v_fmac_f32_e32 v10, 0xbf737871, v47
	v_add_f32_e32 v47, v77, v54
	v_add_f32_e32 v44, v44, v51
	v_fmac_f32_e32 v50, 0xbf167918, v45
	v_add_f32_e32 v49, v49, v52
	v_fmac_f32_e32 v10, 0x3f167918, v45
	v_fma_f32 v47, -0.5, v47, v11
	v_add_f32_e32 v44, v44, v78
	v_fmac_f32_e32 v50, 0x3e9e377a, v49
	v_fmac_f32_e32 v10, 0x3e9e377a, v49
	v_sub_f32_e32 v52, v75, v55
	v_mov_b32_e32 v49, v47
	v_add_f32_e32 v44, v44, v55
	v_fmac_f32_e32 v49, 0x3f737871, v52
	v_sub_f32_e32 v53, v51, v78
	v_sub_f32_e32 v51, v76, v77
	;; [unrolled: 1-line block ×3, first 2 shown]
	v_fmac_f32_e32 v47, 0xbf737871, v52
	v_fmac_f32_e32 v49, 0x3f167918, v53
	v_add_f32_e32 v51, v51, v55
	v_fmac_f32_e32 v47, 0xbf167918, v53
	v_fmac_f32_e32 v49, 0x3e9e377a, v51
	;; [unrolled: 1-line block ×3, first 2 shown]
	v_add_f32_e32 v51, v76, v79
	v_add_f32_e32 v45, v11, v76
	v_fmac_f32_e32 v11, -0.5, v51
	v_mul_f32_e32 v84, v157, v57
	v_add_f32_e32 v45, v45, v77
	v_mov_b32_e32 v51, v11
	v_fmac_f32_e32 v84, v156, v56
	v_add_f32_e32 v45, v45, v54
	v_fmac_f32_e32 v51, 0xbf737871, v53
	v_sub_f32_e32 v55, v77, v76
	v_sub_f32_e32 v54, v54, v79
	v_fmac_f32_e32 v11, 0x3f737871, v53
	v_fmac_f32_e32 v51, 0x3f167918, v52
	v_add_f32_e32 v54, v55, v54
	v_fmac_f32_e32 v11, 0xbf167918, v52
	v_add_f32_e32 v53, v82, v84
	v_mul_f32_e32 v57, v159, v59
	v_fmac_f32_e32 v51, 0x3e9e377a, v54
	v_fmac_f32_e32 v11, 0x3e9e377a, v54
	v_fma_f32 v54, -0.5, v53, v0
	v_fmac_f32_e32 v57, v158, v58
	v_sub_f32_e32 v53, v81, v86
	v_mov_b32_e32 v56, v54
	v_fmac_f32_e32 v56, 0xbf737871, v53
	v_sub_f32_e32 v55, v83, v85
	v_sub_f32_e32 v58, v80, v82
	;; [unrolled: 1-line block ×3, first 2 shown]
	v_fmac_f32_e32 v54, 0x3f737871, v53
	v_fmac_f32_e32 v56, 0xbf167918, v55
	v_add_f32_e32 v58, v58, v59
	v_fmac_f32_e32 v54, 0x3f167918, v55
	v_fmac_f32_e32 v56, 0x3e9e377a, v58
	;; [unrolled: 1-line block ×3, first 2 shown]
	v_add_f32_e32 v58, v80, v57
	v_add_f32_e32 v52, v0, v80
	v_fma_f32 v0, -0.5, v58, v0
	v_mov_b32_e32 v58, v0
	v_add_f32_e32 v52, v52, v82
	v_fmac_f32_e32 v58, 0x3f737871, v55
	v_fmac_f32_e32 v0, 0xbf737871, v55
	v_add_f32_e32 v55, v83, v85
	v_add_f32_e32 v52, v52, v84
	v_sub_f32_e32 v59, v82, v80
	v_sub_f32_e32 v60, v84, v57
	v_fma_f32 v55, -0.5, v55, v1
	v_add_f32_e32 v52, v52, v57
	v_fmac_f32_e32 v58, 0xbf167918, v53
	v_add_f32_e32 v59, v59, v60
	v_fmac_f32_e32 v0, 0x3f167918, v53
	v_sub_f32_e32 v60, v80, v57
	v_mov_b32_e32 v57, v55
	v_fmac_f32_e32 v58, 0x3e9e377a, v59
	v_fmac_f32_e32 v0, 0x3e9e377a, v59
	;; [unrolled: 1-line block ×3, first 2 shown]
	v_sub_f32_e32 v61, v82, v84
	v_sub_f32_e32 v59, v81, v83
	;; [unrolled: 1-line block ×3, first 2 shown]
	v_fmac_f32_e32 v55, 0xbf737871, v60
	v_fmac_f32_e32 v57, 0x3f167918, v61
	v_add_f32_e32 v59, v59, v62
	v_fmac_f32_e32 v55, 0xbf167918, v61
	v_fmac_f32_e32 v57, 0x3e9e377a, v59
	;; [unrolled: 1-line block ×3, first 2 shown]
	v_add_f32_e32 v59, v81, v86
	v_add_f32_e32 v53, v1, v81
	v_fmac_f32_e32 v1, -0.5, v59
	v_mov_b32_e32 v59, v1
	v_sub_f32_e32 v62, v83, v81
	v_sub_f32_e32 v63, v85, v86
	v_fmac_f32_e32 v1, 0x3f737871, v61
	v_add_f32_e32 v53, v53, v83
	v_fmac_f32_e32 v59, 0xbf737871, v61
	v_add_f32_e32 v62, v62, v63
	v_fmac_f32_e32 v1, 0xbf167918, v60
	s_waitcnt vmcnt(1)
	v_mad_u64_u32 v[12:13], s[2:3], s10, v87, 0
	v_add_f32_e32 v53, v53, v85
	v_fmac_f32_e32 v59, 0x3f167918, v60
	v_fmac_f32_e32 v1, 0x3e9e377a, v62
	v_add_f32_e32 v29, v29, v69
	v_add_f32_e32 v45, v45, v79
	;; [unrolled: 1-line block ×3, first 2 shown]
	v_fmac_f32_e32 v59, 0x3e9e377a, v62
	ds_write_b64 v232, v[24:25] offset:2520
	ds_write_b64 v232, v[26:27] offset:5040
	;; [unrolled: 1-line block ×4, first 2 shown]
	ds_write2_b64 v232, v[2:3], v[28:29] offset1:63
	ds_write2_b64 v16, v[32:33], v[40:41] offset0:122 offset1:185
	ds_write2_b64 v18, v[34:35], v[42:43] offset0:181 offset1:244
	;; [unrolled: 1-line block ×5, first 2 shown]
	ds_write_b64 v232, v[50:51] offset:6552
	ds_write_b64 v232, v[10:11] offset:9072
	;; [unrolled: 1-line block ×4, first 2 shown]
	ds_write2_b64 v20, v[48:49], v[56:57] offset0:120 offset1:183
	ds_write_b64 v232, v[58:59] offset:7056
	ds_write_b64 v232, v[0:1] offset:9576
	;; [unrolled: 1-line block ×3, first 2 shown]
	s_waitcnt lgkmcnt(0)
	; wave barrier
	s_waitcnt lgkmcnt(0)
	ds_read2_b64 v[0:3], v232 offset1:63
	v_mov_b32_e32 v4, v13
	v_mad_u64_u32 v[4:5], s[2:3], s11, v87, v[4:5]
	s_mov_b32 s2, 0xae67b348
	s_waitcnt lgkmcnt(0)
	v_mul_f32_e32 v5, v219, v1
	v_fmac_f32_e32 v5, v218, v0
	v_cvt_f64_f32_e32 v[5:6], v5
	s_mov_b32 s3, 0x3f44ce19
	v_mad_u64_u32 v[8:9], s[4:5], s8, v233, 0
	v_mul_f64 v[5:6], v[5:6], s[2:3]
	v_mov_b32_e32 v13, v4
	v_mov_b32_e32 v4, v9
	v_mul_f32_e32 v0, v219, v0
	v_fma_f32 v0, v218, v1, -v0
	v_cvt_f64_f32_e32 v[0:1], v0
	v_mov_b32_e32 v20, s13
	s_mul_hi_u32 s7, s8, 0xfffffc25
	v_mad_u64_u32 v[9:10], s[4:5], s9, v233, v[4:5]
	v_cvt_f32_f64_e32 v10, v[5:6]
	ds_read2_b64 v[4:7], v18 offset0:13 offset1:76
	buffer_load_dword v21, off, s[20:23], 0 offset:184 ; 4-byte Folded Reload
	buffer_load_dword v22, off, s[20:23], 0 offset:188 ; 4-byte Folded Reload
	v_mul_f64 v[0:1], v[0:1], s[2:3]
	v_lshlrev_b64 v[8:9], 3, v[8:9]
	s_mul_i32 s4, s9, 0x20d
	s_mul_hi_u32 s5, s8, 0x20d
	s_add_i32 s5, s5, s4
	s_mul_i32 s4, s8, 0x20d
	s_lshl_b64 s[4:5], s[4:5], 3
	s_mul_i32 s6, s9, 0xfffffc25
	v_cvt_f32_f64_e32 v11, v[0:1]
	v_lshlrev_b64 v[0:1], 3, v[12:13]
	s_sub_i32 s7, s7, s8
	s_add_i32 s7, s7, s6
	s_mul_i32 s6, s8, 0xfffffc25
	s_lshl_b64 s[6:7], s[6:7], 3
	s_movk_i32 s10, 0x2000
	s_waitcnt vmcnt(0) lgkmcnt(0)
	v_mul_f32_e32 v12, v22, v5
	v_fmac_f32_e32 v12, v21, v4
	v_cvt_f64_f32_e32 v[12:13], v12
	v_mul_f32_e32 v4, v22, v4
	v_fma_f32 v4, v21, v5, -v4
	v_add_co_u32_e32 v21, vcc, s12, v0
	v_addc_co_u32_e32 v20, vcc, v20, v1, vcc
	v_mul_f64 v[0:1], v[12:13], s[2:3]
	v_add_co_u32_e32 v12, vcc, v21, v8
	v_addc_co_u32_e32 v13, vcc, v20, v9, vcc
	global_store_dwordx2 v[12:13], v[10:11], off
	ds_read2_b64 v[8:11], v19 offset0:26 offset1:89
	buffer_load_dword v22, off, s[20:23], 0 offset:168 ; 4-byte Folded Reload
	buffer_load_dword v23, off, s[20:23], 0 offset:172 ; 4-byte Folded Reload
	v_cvt_f64_f32_e32 v[4:5], v4
	v_cvt_f32_f64_e32 v20, v[0:1]
	buffer_load_dword v24, off, s[20:23], 0 offset:176 ; 4-byte Folded Reload
	buffer_load_dword v25, off, s[20:23], 0 offset:180 ; 4-byte Folded Reload
	v_mov_b32_e32 v1, s5
	v_mul_f64 v[4:5], v[4:5], s[2:3]
	v_add_co_u32_e32 v12, vcc, s4, v12
	v_addc_co_u32_e32 v13, vcc, v13, v1, vcc
	v_cvt_f32_f64_e32 v21, v[4:5]
	global_store_dwordx2 v[12:13], v[20:21], off
	s_waitcnt vmcnt(3) lgkmcnt(0)
	v_mul_f32_e32 v0, v23, v9
	v_fmac_f32_e32 v0, v22, v8
	v_cvt_f64_f32_e32 v[4:5], v0
	v_mul_f32_e32 v0, v23, v8
	v_fma_f32 v0, v22, v9, -v0
	v_cvt_f64_f32_e32 v[8:9], v0
	v_mul_f64 v[4:5], v[4:5], s[2:3]
	s_waitcnt vmcnt(1)
	v_mul_f32_e32 v0, v25, v3
	v_fmac_f32_e32 v0, v24, v2
	v_mul_f64 v[8:9], v[8:9], s[2:3]
	v_cvt_f64_f32_e32 v[22:23], v0
	v_mul_f32_e32 v0, v25, v2
	v_fma_f32 v0, v24, v3, -v0
	v_cvt_f64_f32_e32 v[2:3], v0
	v_cvt_f32_f64_e32 v4, v[4:5]
	v_mul_f64 v[20:21], v[22:23], s[2:3]
	v_mov_b32_e32 v0, s7
	v_cvt_f32_f64_e32 v5, v[8:9]
	v_add_co_u32_e32 v8, vcc, s4, v12
	v_addc_co_u32_e32 v9, vcc, v13, v1, vcc
	global_store_dwordx2 v[8:9], v[4:5], off
	buffer_load_dword v12, off, s[20:23], 0 offset:152 ; 4-byte Folded Reload
	buffer_load_dword v13, off, s[20:23], 0 offset:156 ; 4-byte Folded Reload
	v_mul_f64 v[2:3], v[2:3], s[2:3]
	v_cvt_f32_f64_e32 v4, v[20:21]
	v_add_co_u32_e32 v8, vcc, s6, v8
	v_addc_co_u32_e32 v9, vcc, v9, v0, vcc
	v_add_co_u32_e32 v20, vcc, s4, v8
	v_cvt_f32_f64_e32 v5, v[2:3]
	v_addc_co_u32_e32 v21, vcc, v9, v1, vcc
	global_store_dwordx2 v[8:9], v[4:5], off
	s_waitcnt vmcnt(1)
	v_mul_f32_e32 v2, v13, v7
	v_fmac_f32_e32 v2, v12, v6
	v_mul_f32_e32 v6, v13, v6
	v_fma_f32 v6, v12, v7, -v6
	buffer_load_dword v12, off, s[20:23], 0 offset:144 ; 4-byte Folded Reload
	buffer_load_dword v13, off, s[20:23], 0 offset:148 ; 4-byte Folded Reload
	v_cvt_f64_f32_e32 v[6:7], v6
	v_cvt_f64_f32_e32 v[2:3], v2
	v_mul_f64 v[4:5], v[6:7], s[2:3]
	v_mul_f64 v[2:3], v[2:3], s[2:3]
	s_waitcnt vmcnt(0)
	v_mul_f32_e32 v6, v13, v11
	v_fmac_f32_e32 v6, v12, v10
	v_cvt_f64_f32_e32 v[6:7], v6
	v_mul_f32_e32 v10, v13, v10
	v_fma_f32 v10, v12, v11, -v10
	v_cvt_f32_f64_e32 v12, v[2:3]
	v_mul_f64 v[6:7], v[6:7], s[2:3]
	v_cvt_f32_f64_e32 v13, v[4:5]
	ds_read2_b64 v[2:5], v232 offset0:126 offset1:189
	v_cvt_f64_f32_e32 v[10:11], v10
	global_store_dwordx2 v[20:21], v[12:13], off
	v_add_co_u32_e32 v20, vcc, s4, v20
	v_cvt_f32_f64_e32 v12, v[6:7]
	buffer_load_dword v7, off, s[20:23], 0 offset:128 ; 4-byte Folded Reload
	buffer_load_dword v8, off, s[20:23], 0 offset:132 ; 4-byte Folded Reload
	v_mul_f64 v[10:11], v[10:11], s[2:3]
	v_addc_co_u32_e32 v21, vcc, v21, v1, vcc
	v_cvt_f32_f64_e32 v13, v[10:11]
	global_store_dwordx2 v[20:21], v[12:13], off
	s_waitcnt vmcnt(1) lgkmcnt(0)
	v_mul_f32_e32 v6, v8, v3
	v_fmac_f32_e32 v6, v7, v2
	v_mul_f32_e32 v2, v8, v2
	v_cvt_f64_f32_e32 v[10:11], v6
	v_fma_f32 v2, v7, v3, -v2
	ds_read2_b64 v[6:9], v18 offset0:139 offset1:202
	buffer_load_dword v22, off, s[20:23], 0 offset:120 ; 4-byte Folded Reload
	buffer_load_dword v23, off, s[20:23], 0 offset:124 ; 4-byte Folded Reload
	v_cvt_f64_f32_e32 v[2:3], v2
	v_mul_f64 v[10:11], v[10:11], s[2:3]
	v_add_co_u32_e32 v18, vcc, s6, v20
	v_mul_f64 v[2:3], v[2:3], s[2:3]
	s_waitcnt vmcnt(0) lgkmcnt(0)
	v_mul_f32_e32 v12, v23, v7
	v_fmac_f32_e32 v12, v22, v6
	v_cvt_f64_f32_e32 v[12:13], v12
	v_mul_f32_e32 v6, v23, v6
	v_fma_f32 v6, v22, v7, -v6
	v_cvt_f32_f64_e32 v22, v[10:11]
	v_cvt_f32_f64_e32 v23, v[2:3]
	v_mul_f64 v[2:3], v[12:13], s[2:3]
	ds_read2_b64 v[10:13], v19 offset0:152 offset1:215
	v_addc_co_u32_e32 v19, vcc, v21, v0, vcc
	global_store_dwordx2 v[18:19], v[22:23], off
	buffer_load_dword v20, off, s[20:23], 0 offset:136 ; 4-byte Folded Reload
	buffer_load_dword v21, off, s[20:23], 0 offset:140 ; 4-byte Folded Reload
	v_cvt_f64_f32_e32 v[6:7], v6
	buffer_load_dword v22, off, s[20:23], 0 offset:104 ; 4-byte Folded Reload
	buffer_load_dword v23, off, s[20:23], 0 offset:108 ; 4-byte Folded Reload
	v_cvt_f32_f64_e32 v2, v[2:3]
	v_add_co_u32_e32 v18, vcc, s4, v18
	v_mul_f64 v[6:7], v[6:7], s[2:3]
	v_addc_co_u32_e32 v19, vcc, v19, v1, vcc
	v_cvt_f32_f64_e32 v3, v[6:7]
	global_store_dwordx2 v[18:19], v[2:3], off
	s_waitcnt vmcnt(3) lgkmcnt(0)
	v_mul_f32_e32 v6, v21, v11
	v_fmac_f32_e32 v6, v20, v10
	v_mul_f32_e32 v10, v21, v10
	v_fma_f32 v10, v20, v11, -v10
	v_cvt_f64_f32_e32 v[6:7], v6
	v_cvt_f64_f32_e32 v[10:11], v10
	s_waitcnt vmcnt(1)
	v_mul_f32_e32 v20, v23, v5
	v_fmac_f32_e32 v20, v22, v4
	v_mul_f64 v[6:7], v[6:7], s[2:3]
	v_mul_f64 v[10:11], v[10:11], s[2:3]
	v_mul_f32_e32 v4, v23, v4
	v_fma_f32 v4, v22, v5, -v4
	v_cvt_f64_f32_e32 v[20:21], v20
	v_cvt_f64_f32_e32 v[4:5], v4
	v_cvt_f32_f64_e32 v2, v[6:7]
	v_cvt_f32_f64_e32 v3, v[10:11]
	v_add_co_u32_e32 v10, vcc, s4, v18
	v_addc_co_u32_e32 v11, vcc, v19, v1, vcc
	global_store_dwordx2 v[10:11], v[2:3], off
	buffer_load_dword v18, off, s[20:23], 0 offset:88 ; 4-byte Folded Reload
	buffer_load_dword v19, off, s[20:23], 0 offset:92 ; 4-byte Folded Reload
	v_mul_f64 v[6:7], v[20:21], s[2:3]
	v_mul_f64 v[4:5], v[4:5], s[2:3]
	v_cvt_f32_f64_e32 v2, v[6:7]
	v_cvt_f32_f64_e32 v3, v[4:5]
	s_waitcnt vmcnt(0)
	v_mul_f32_e32 v4, v19, v9
	v_fmac_f32_e32 v4, v18, v8
	v_mul_f32_e32 v6, v19, v8
	v_add_co_u32_e32 v8, vcc, s6, v10
	v_fma_f32 v6, v18, v9, -v6
	v_addc_co_u32_e32 v9, vcc, v11, v0, vcc
	global_store_dwordx2 v[8:9], v[2:3], off
	buffer_load_dword v18, off, s[20:23], 0 offset:80 ; 4-byte Folded Reload
	buffer_load_dword v19, off, s[20:23], 0 offset:84 ; 4-byte Folded Reload
	v_cvt_f64_f32_e32 v[4:5], v4
	v_cvt_f64_f32_e32 v[6:7], v6
	v_mul_f64 v[2:3], v[4:5], s[2:3]
	v_mul_f64 v[4:5], v[6:7], s[2:3]
	s_waitcnt vmcnt(0)
	v_mul_f32_e32 v6, v19, v13
	v_fmac_f32_e32 v6, v18, v12
	v_cvt_f64_f32_e32 v[6:7], v6
	v_mul_f32_e32 v10, v19, v12
	v_fma_f32 v10, v18, v13, -v10
	v_cvt_f32_f64_e32 v12, v[2:3]
	v_mul_f64 v[6:7], v[6:7], s[2:3]
	v_cvt_f32_f64_e32 v13, v[4:5]
	ds_read2_b64 v[2:5], v17 offset0:124 offset1:187
	v_add_co_u32_e32 v17, vcc, s4, v8
	v_addc_co_u32_e32 v18, vcc, v9, v1, vcc
	global_store_dwordx2 v[17:18], v[12:13], off
	v_cvt_f32_f64_e32 v12, v[6:7]
	buffer_load_dword v7, off, s[20:23], 0 offset:112 ; 4-byte Folded Reload
	buffer_load_dword v8, off, s[20:23], 0 offset:116 ; 4-byte Folded Reload
	v_cvt_f64_f32_e32 v[10:11], v10
	v_add_co_u32_e32 v17, vcc, s4, v17
	v_addc_co_u32_e32 v18, vcc, v18, v1, vcc
	v_mul_f64 v[10:11], v[10:11], s[2:3]
	v_cvt_f32_f64_e32 v13, v[10:11]
	global_store_dwordx2 v[17:18], v[12:13], off
	v_add_co_u32_e32 v17, vcc, s6, v17
	v_addc_co_u32_e32 v18, vcc, v18, v0, vcc
	s_waitcnt vmcnt(1) lgkmcnt(0)
	v_mul_f32_e32 v6, v8, v3
	v_fmac_f32_e32 v6, v7, v2
	v_mul_f32_e32 v2, v8, v2
	v_cvt_f64_f32_e32 v[10:11], v6
	v_fma_f32 v2, v7, v3, -v2
	ds_read2_b64 v[6:9], v15 offset0:9 offset1:72
	buffer_load_dword v19, off, s[20:23], 0 offset:96 ; 4-byte Folded Reload
	buffer_load_dword v20, off, s[20:23], 0 offset:100 ; 4-byte Folded Reload
	v_cvt_f64_f32_e32 v[2:3], v2
	v_mul_f64 v[10:11], v[10:11], s[2:3]
	v_mul_f64 v[2:3], v[2:3], s[2:3]
	s_waitcnt vmcnt(0) lgkmcnt(0)
	v_mul_f32_e32 v12, v20, v7
	v_fmac_f32_e32 v12, v19, v6
	v_mul_f32_e32 v6, v20, v6
	v_fma_f32 v6, v19, v7, -v6
	v_cvt_f32_f64_e32 v19, v[10:11]
	v_cvt_f32_f64_e32 v20, v[2:3]
	v_cvt_f64_f32_e32 v[12:13], v12
	v_cvt_f64_f32_e32 v[6:7], v6
	global_store_dwordx2 v[17:18], v[19:20], off
	v_mul_f64 v[2:3], v[12:13], s[2:3]
	ds_read2_b64 v[10:13], v14 offset0:22 offset1:85
	buffer_load_dword v19, off, s[20:23], 0 offset:72 ; 4-byte Folded Reload
	buffer_load_dword v20, off, s[20:23], 0 offset:76 ; 4-byte Folded Reload
	v_mul_f64 v[6:7], v[6:7], s[2:3]
	buffer_load_dword v21, off, s[20:23], 0 offset:64 ; 4-byte Folded Reload
	buffer_load_dword v22, off, s[20:23], 0 offset:68 ; 4-byte Folded Reload
	v_add_co_u32_e32 v17, vcc, s4, v17
	v_addc_co_u32_e32 v18, vcc, v18, v1, vcc
	v_cvt_f32_f64_e32 v2, v[2:3]
	v_cvt_f32_f64_e32 v3, v[6:7]
	global_store_dwordx2 v[17:18], v[2:3], off
	s_waitcnt vmcnt(3) lgkmcnt(0)
	v_mul_f32_e32 v6, v20, v11
	v_fmac_f32_e32 v6, v19, v10
	v_mul_f32_e32 v10, v20, v10
	v_fma_f32 v10, v19, v11, -v10
	v_cvt_f64_f32_e32 v[6:7], v6
	v_cvt_f64_f32_e32 v[10:11], v10
	s_waitcnt vmcnt(1)
	v_mul_f32_e32 v19, v22, v5
	v_fmac_f32_e32 v19, v21, v4
	v_mul_f64 v[6:7], v[6:7], s[2:3]
	v_mul_f64 v[10:11], v[10:11], s[2:3]
	v_mul_f32_e32 v4, v22, v4
	v_fma_f32 v4, v21, v5, -v4
	v_cvt_f64_f32_e32 v[19:20], v19
	v_cvt_f64_f32_e32 v[4:5], v4
	v_cvt_f32_f64_e32 v2, v[6:7]
	v_cvt_f32_f64_e32 v3, v[10:11]
	v_add_co_u32_e32 v10, vcc, s4, v17
	v_addc_co_u32_e32 v11, vcc, v18, v1, vcc
	global_store_dwordx2 v[10:11], v[2:3], off
	buffer_load_dword v17, off, s[20:23], 0 offset:56 ; 4-byte Folded Reload
	buffer_load_dword v18, off, s[20:23], 0 offset:60 ; 4-byte Folded Reload
	v_mul_f64 v[6:7], v[19:20], s[2:3]
	v_mul_f64 v[4:5], v[4:5], s[2:3]
	v_cvt_f32_f64_e32 v2, v[6:7]
	v_cvt_f32_f64_e32 v3, v[4:5]
	s_waitcnt vmcnt(0)
	v_mul_f32_e32 v4, v18, v9
	v_fmac_f32_e32 v4, v17, v8
	v_mul_f32_e32 v6, v18, v8
	v_add_co_u32_e32 v8, vcc, s6, v10
	v_fma_f32 v6, v17, v9, -v6
	v_addc_co_u32_e32 v9, vcc, v11, v0, vcc
	global_store_dwordx2 v[8:9], v[2:3], off
	buffer_load_dword v17, off, s[20:23], 0 offset:48 ; 4-byte Folded Reload
	buffer_load_dword v18, off, s[20:23], 0 offset:52 ; 4-byte Folded Reload
	v_cvt_f64_f32_e32 v[4:5], v4
	v_cvt_f64_f32_e32 v[6:7], v6
	v_mul_f64 v[2:3], v[4:5], s[2:3]
	v_mul_f64 v[4:5], v[6:7], s[2:3]
	s_waitcnt vmcnt(0)
	v_mul_f32_e32 v6, v18, v13
	v_fmac_f32_e32 v6, v17, v12
	v_cvt_f64_f32_e32 v[6:7], v6
	v_mul_f32_e32 v10, v18, v12
	v_fma_f32 v10, v17, v13, -v10
	v_cvt_f32_f64_e32 v12, v[2:3]
	v_mul_f64 v[6:7], v[6:7], s[2:3]
	v_cvt_f32_f64_e32 v13, v[4:5]
	ds_read2_b64 v[2:5], v16 offset0:122 offset1:185
	v_add_co_u32_e32 v16, vcc, s4, v8
	v_addc_co_u32_e32 v17, vcc, v9, v1, vcc
	global_store_dwordx2 v[16:17], v[12:13], off
	v_cvt_f32_f64_e32 v12, v[6:7]
	buffer_load_dword v7, off, s[20:23], 0 offset:40 ; 4-byte Folded Reload
	buffer_load_dword v8, off, s[20:23], 0 offset:44 ; 4-byte Folded Reload
	v_cvt_f64_f32_e32 v[10:11], v10
	v_mul_f64 v[10:11], v[10:11], s[2:3]
	v_cvt_f32_f64_e32 v13, v[10:11]
	s_waitcnt vmcnt(0) lgkmcnt(0)
	v_mul_f32_e32 v6, v8, v3
	v_fmac_f32_e32 v6, v7, v2
	v_mul_f32_e32 v2, v8, v2
	v_cvt_f64_f32_e32 v[10:11], v6
	v_fma_f32 v2, v7, v3, -v2
	ds_read2_b64 v[6:9], v15 offset0:135 offset1:198
	v_add_co_u32_e32 v15, vcc, s4, v16
	v_addc_co_u32_e32 v16, vcc, v17, v1, vcc
	global_store_dwordx2 v[15:16], v[12:13], off
	buffer_load_dword v17, off, s[20:23], 0 offset:32 ; 4-byte Folded Reload
	buffer_load_dword v18, off, s[20:23], 0 offset:36 ; 4-byte Folded Reload
	v_cvt_f64_f32_e32 v[2:3], v2
	v_mul_f64 v[10:11], v[10:11], s[2:3]
	v_mul_f64 v[2:3], v[2:3], s[2:3]
	s_waitcnt vmcnt(0) lgkmcnt(0)
	v_mul_f32_e32 v12, v18, v7
	v_fmac_f32_e32 v12, v17, v6
	v_cvt_f64_f32_e32 v[12:13], v12
	v_mul_f32_e32 v6, v18, v6
	v_fma_f32 v6, v17, v7, -v6
	v_cvt_f32_f64_e32 v17, v[10:11]
	v_cvt_f32_f64_e32 v18, v[2:3]
	v_mul_f64 v[2:3], v[12:13], s[2:3]
	ds_read2_b64 v[10:13], v14 offset0:148 offset1:211
	v_add_co_u32_e32 v14, vcc, s6, v15
	v_addc_co_u32_e32 v15, vcc, v16, v0, vcc
	global_store_dwordx2 v[14:15], v[17:18], off
	buffer_load_dword v16, off, s[20:23], 0 offset:24 ; 4-byte Folded Reload
	s_nop 0
	buffer_load_dword v17, off, s[20:23], 0 offset:28 ; 4-byte Folded Reload
	v_cvt_f64_f32_e32 v[6:7], v6
	v_cvt_f32_f64_e32 v2, v[2:3]
	buffer_load_dword v18, off, s[20:23], 0 offset:16 ; 4-byte Folded Reload
	buffer_load_dword v19, off, s[20:23], 0 offset:20 ; 4-byte Folded Reload
	v_add_co_u32_e32 v14, vcc, s4, v14
	v_mul_f64 v[6:7], v[6:7], s[2:3]
	v_addc_co_u32_e32 v15, vcc, v15, v1, vcc
	v_cvt_f32_f64_e32 v3, v[6:7]
	global_store_dwordx2 v[14:15], v[2:3], off
	s_waitcnt vmcnt(3) lgkmcnt(0)
	v_mul_f32_e32 v6, v17, v11
	v_fmac_f32_e32 v6, v16, v10
	v_mul_f32_e32 v10, v17, v10
	v_fma_f32 v10, v16, v11, -v10
	v_cvt_f64_f32_e32 v[6:7], v6
	v_cvt_f64_f32_e32 v[10:11], v10
	s_waitcnt vmcnt(1)
	v_mul_f32_e32 v16, v19, v5
	v_fmac_f32_e32 v16, v18, v4
	v_mul_f64 v[6:7], v[6:7], s[2:3]
	v_mul_f64 v[10:11], v[10:11], s[2:3]
	v_mul_f32_e32 v4, v19, v4
	v_fma_f32 v4, v18, v5, -v4
	v_cvt_f64_f32_e32 v[16:17], v16
	v_cvt_f64_f32_e32 v[4:5], v4
	v_cvt_f32_f64_e32 v2, v[6:7]
	v_cvt_f32_f64_e32 v3, v[10:11]
	v_add_co_u32_e32 v10, vcc, s4, v14
	v_addc_co_u32_e32 v11, vcc, v15, v1, vcc
	global_store_dwordx2 v[10:11], v[2:3], off
	buffer_load_dword v14, off, s[20:23], 0 offset:8 ; 4-byte Folded Reload
	buffer_load_dword v15, off, s[20:23], 0 offset:12 ; 4-byte Folded Reload
	v_mul_f64 v[6:7], v[16:17], s[2:3]
	v_mul_f64 v[4:5], v[4:5], s[2:3]
	v_cvt_f32_f64_e32 v2, v[6:7]
	v_cvt_f32_f64_e32 v3, v[4:5]
	s_waitcnt vmcnt(0)
	v_mul_f32_e32 v4, v15, v9
	v_mul_f32_e32 v6, v15, v8
	v_fmac_f32_e32 v4, v14, v8
	v_fma_f32 v6, v14, v9, -v6
	buffer_load_dword v14, off, s[20:23], 0 ; 4-byte Folded Reload
	buffer_load_dword v15, off, s[20:23], 0 offset:4 ; 4-byte Folded Reload
	v_cvt_f64_f32_e32 v[4:5], v4
	v_add_co_u32_e32 v8, vcc, s6, v10
	v_cvt_f64_f32_e32 v[6:7], v6
	v_addc_co_u32_e32 v9, vcc, v11, v0, vcc
	v_mul_f64 v[4:5], v[4:5], s[2:3]
	v_mul_f64 v[6:7], v[6:7], s[2:3]
	global_store_dwordx2 v[8:9], v[2:3], off
	v_cvt_f32_f64_e32 v2, v[4:5]
	v_cvt_f32_f64_e32 v3, v[6:7]
	v_add_co_u32_e32 v6, vcc, s4, v8
	v_addc_co_u32_e32 v7, vcc, v9, v1, vcc
	global_store_dwordx2 v[6:7], v[2:3], off
	s_waitcnt vmcnt(2)
	v_mul_f32_e32 v0, v15, v13
	v_fmac_f32_e32 v0, v14, v12
	v_cvt_f64_f32_e32 v[10:11], v0
	v_mul_f32_e32 v0, v15, v12
	v_fma_f32 v0, v14, v13, -v0
	v_cvt_f64_f32_e32 v[12:13], v0
	v_mul_f64 v[4:5], v[10:11], s[2:3]
	v_add_co_u32_e32 v0, vcc, s4, v6
	v_mul_f64 v[10:11], v[12:13], s[2:3]
	v_addc_co_u32_e32 v1, vcc, v7, v1, vcc
	v_cvt_f32_f64_e32 v2, v[4:5]
	v_cvt_f32_f64_e32 v3, v[10:11]
	global_store_dwordx2 v[0:1], v[2:3], off
	s_and_b64 exec, exec, s[0:1]
	s_cbranch_execz .LBB0_31
; %bb.30:
	global_load_dwordx2 v[2:3], v[212:213], off offset:4032
	ds_read_b64 v[4:5], v232 offset:4032
	ds_read_b64 v[6:7], v232 offset:8232
	;; [unrolled: 1-line block ×3, first 2 shown]
	v_mov_b32_e32 v12, s7
	s_movk_i32 s0, 0x3000
	s_waitcnt vmcnt(0) lgkmcnt(2)
	v_mul_f32_e32 v10, v5, v3
	v_mul_f32_e32 v3, v4, v3
	v_fmac_f32_e32 v10, v4, v2
	v_fma_f32 v4, v2, v5, -v3
	v_cvt_f64_f32_e32 v[2:3], v10
	v_cvt_f64_f32_e32 v[4:5], v4
	v_add_co_u32_e32 v10, vcc, s10, v212
	v_mul_f64 v[2:3], v[2:3], s[2:3]
	v_mul_f64 v[4:5], v[4:5], s[2:3]
	v_addc_co_u32_e32 v11, vcc, 0, v213, vcc
	v_add_co_u32_e32 v0, vcc, s6, v0
	v_addc_co_u32_e32 v1, vcc, v1, v12, vcc
	v_cvt_f32_f64_e32 v2, v[2:3]
	v_cvt_f32_f64_e32 v3, v[4:5]
	global_store_dwordx2 v[0:1], v[2:3], off
	global_load_dwordx2 v[2:3], v[10:11], off offset:40
	v_mov_b32_e32 v10, s5
	s_waitcnt vmcnt(0) lgkmcnt(1)
	v_mul_f32_e32 v4, v7, v3
	v_mul_f32_e32 v3, v6, v3
	v_fmac_f32_e32 v4, v6, v2
	v_fma_f32 v5, v2, v7, -v3
	v_cvt_f64_f32_e32 v[2:3], v4
	v_cvt_f64_f32_e32 v[4:5], v5
	v_add_co_u32_e32 v6, vcc, s0, v212
	v_mul_f64 v[2:3], v[2:3], s[2:3]
	v_mul_f64 v[4:5], v[4:5], s[2:3]
	v_addc_co_u32_e32 v7, vcc, 0, v213, vcc
	v_add_co_u32_e32 v0, vcc, s4, v0
	v_addc_co_u32_e32 v1, vcc, v1, v10, vcc
	v_cvt_f32_f64_e32 v2, v[2:3]
	v_cvt_f32_f64_e32 v3, v[4:5]
	global_store_dwordx2 v[0:1], v[2:3], off
	global_load_dwordx2 v[2:3], v[6:7], off offset:144
	v_add_co_u32_e32 v0, vcc, s4, v0
	v_addc_co_u32_e32 v1, vcc, v1, v10, vcc
	s_waitcnt vmcnt(0) lgkmcnt(0)
	v_mul_f32_e32 v4, v9, v3
	v_mul_f32_e32 v3, v8, v3
	v_fmac_f32_e32 v4, v8, v2
	v_fma_f32 v5, v2, v9, -v3
	v_cvt_f64_f32_e32 v[2:3], v4
	v_cvt_f64_f32_e32 v[4:5], v5
	v_mul_f64 v[2:3], v[2:3], s[2:3]
	v_mul_f64 v[4:5], v[4:5], s[2:3]
	v_cvt_f32_f64_e32 v2, v[2:3]
	v_cvt_f32_f64_e32 v3, v[4:5]
	global_store_dwordx2 v[0:1], v[2:3], off
.LBB0_31:
	s_endpgm
	.section	.rodata,"a",@progbits
	.p2align	6, 0x0
	.amdhsa_kernel bluestein_single_back_len1575_dim1_sp_op_CI_CI
		.amdhsa_group_segment_fixed_size 12600
		.amdhsa_private_segment_fixed_size 292
		.amdhsa_kernarg_size 104
		.amdhsa_user_sgpr_count 6
		.amdhsa_user_sgpr_private_segment_buffer 1
		.amdhsa_user_sgpr_dispatch_ptr 0
		.amdhsa_user_sgpr_queue_ptr 0
		.amdhsa_user_sgpr_kernarg_segment_ptr 1
		.amdhsa_user_sgpr_dispatch_id 0
		.amdhsa_user_sgpr_flat_scratch_init 0
		.amdhsa_user_sgpr_private_segment_size 0
		.amdhsa_uses_dynamic_stack 0
		.amdhsa_system_sgpr_private_segment_wavefront_offset 1
		.amdhsa_system_sgpr_workgroup_id_x 1
		.amdhsa_system_sgpr_workgroup_id_y 0
		.amdhsa_system_sgpr_workgroup_id_z 0
		.amdhsa_system_sgpr_workgroup_info 0
		.amdhsa_system_vgpr_workitem_id 0
		.amdhsa_next_free_vgpr 256
		.amdhsa_next_free_sgpr 24
		.amdhsa_reserve_vcc 1
		.amdhsa_reserve_flat_scratch 0
		.amdhsa_float_round_mode_32 0
		.amdhsa_float_round_mode_16_64 0
		.amdhsa_float_denorm_mode_32 3
		.amdhsa_float_denorm_mode_16_64 3
		.amdhsa_dx10_clamp 1
		.amdhsa_ieee_mode 1
		.amdhsa_fp16_overflow 0
		.amdhsa_exception_fp_ieee_invalid_op 0
		.amdhsa_exception_fp_denorm_src 0
		.amdhsa_exception_fp_ieee_div_zero 0
		.amdhsa_exception_fp_ieee_overflow 0
		.amdhsa_exception_fp_ieee_underflow 0
		.amdhsa_exception_fp_ieee_inexact 0
		.amdhsa_exception_int_div_zero 0
	.end_amdhsa_kernel
	.text
.Lfunc_end0:
	.size	bluestein_single_back_len1575_dim1_sp_op_CI_CI, .Lfunc_end0-bluestein_single_back_len1575_dim1_sp_op_CI_CI
                                        ; -- End function
	.section	.AMDGPU.csdata,"",@progbits
; Kernel info:
; codeLenInByte = 28788
; NumSgprs: 28
; NumVgprs: 256
; ScratchSize: 292
; MemoryBound: 0
; FloatMode: 240
; IeeeMode: 1
; LDSByteSize: 12600 bytes/workgroup (compile time only)
; SGPRBlocks: 3
; VGPRBlocks: 63
; NumSGPRsForWavesPerEU: 28
; NumVGPRsForWavesPerEU: 256
; Occupancy: 1
; WaveLimiterHint : 1
; COMPUTE_PGM_RSRC2:SCRATCH_EN: 1
; COMPUTE_PGM_RSRC2:USER_SGPR: 6
; COMPUTE_PGM_RSRC2:TRAP_HANDLER: 0
; COMPUTE_PGM_RSRC2:TGID_X_EN: 1
; COMPUTE_PGM_RSRC2:TGID_Y_EN: 0
; COMPUTE_PGM_RSRC2:TGID_Z_EN: 0
; COMPUTE_PGM_RSRC2:TIDIG_COMP_CNT: 0
	.type	__hip_cuid_6502a379f6eb6294,@object ; @__hip_cuid_6502a379f6eb6294
	.section	.bss,"aw",@nobits
	.globl	__hip_cuid_6502a379f6eb6294
__hip_cuid_6502a379f6eb6294:
	.byte	0                               ; 0x0
	.size	__hip_cuid_6502a379f6eb6294, 1

	.ident	"AMD clang version 19.0.0git (https://github.com/RadeonOpenCompute/llvm-project roc-6.4.0 25133 c7fe45cf4b819c5991fe208aaa96edf142730f1d)"
	.section	".note.GNU-stack","",@progbits
	.addrsig
	.addrsig_sym __hip_cuid_6502a379f6eb6294
	.amdgpu_metadata
---
amdhsa.kernels:
  - .args:
      - .actual_access:  read_only
        .address_space:  global
        .offset:         0
        .size:           8
        .value_kind:     global_buffer
      - .actual_access:  read_only
        .address_space:  global
        .offset:         8
        .size:           8
        .value_kind:     global_buffer
      - .actual_access:  read_only
        .address_space:  global
        .offset:         16
        .size:           8
        .value_kind:     global_buffer
      - .actual_access:  read_only
        .address_space:  global
        .offset:         24
        .size:           8
        .value_kind:     global_buffer
      - .actual_access:  read_only
        .address_space:  global
        .offset:         32
        .size:           8
        .value_kind:     global_buffer
      - .offset:         40
        .size:           8
        .value_kind:     by_value
      - .address_space:  global
        .offset:         48
        .size:           8
        .value_kind:     global_buffer
      - .address_space:  global
        .offset:         56
        .size:           8
        .value_kind:     global_buffer
      - .address_space:  global
        .offset:         64
        .size:           8
        .value_kind:     global_buffer
      - .address_space:  global
        .offset:         72
        .size:           8
        .value_kind:     global_buffer
      - .offset:         80
        .size:           4
        .value_kind:     by_value
      - .address_space:  global
        .offset:         88
        .size:           8
        .value_kind:     global_buffer
      - .address_space:  global
        .offset:         96
        .size:           8
        .value_kind:     global_buffer
    .group_segment_fixed_size: 12600
    .kernarg_segment_align: 8
    .kernarg_segment_size: 104
    .language:       OpenCL C
    .language_version:
      - 2
      - 0
    .max_flat_workgroup_size: 63
    .name:           bluestein_single_back_len1575_dim1_sp_op_CI_CI
    .private_segment_fixed_size: 292
    .sgpr_count:     28
    .sgpr_spill_count: 0
    .symbol:         bluestein_single_back_len1575_dim1_sp_op_CI_CI.kd
    .uniform_work_group_size: 1
    .uses_dynamic_stack: false
    .vgpr_count:     256
    .vgpr_spill_count: 72
    .wavefront_size: 64
amdhsa.target:   amdgcn-amd-amdhsa--gfx906
amdhsa.version:
  - 1
  - 2
...

	.end_amdgpu_metadata
